;; amdgpu-corpus repo=ROCm/rocFFT kind=compiled arch=gfx1201 opt=O3
	.text
	.amdgcn_target "amdgcn-amd-amdhsa--gfx1201"
	.amdhsa_code_object_version 6
	.protected	bluestein_single_fwd_len702_dim1_half_op_CI_CI ; -- Begin function bluestein_single_fwd_len702_dim1_half_op_CI_CI
	.globl	bluestein_single_fwd_len702_dim1_half_op_CI_CI
	.p2align	8
	.type	bluestein_single_fwd_len702_dim1_half_op_CI_CI,@function
bluestein_single_fwd_len702_dim1_half_op_CI_CI: ; @bluestein_single_fwd_len702_dim1_half_op_CI_CI
; %bb.0:
	s_load_b128 s[8:11], s[0:1], 0x28
	v_mul_u32_u24_e32 v1, 0x231, v0
	s_mov_b32 s2, exec_lo
	v_mov_b32_e32 v5, 0
	s_delay_alu instid0(VALU_DEP_2) | instskip(NEXT) | instid1(VALU_DEP_1)
	v_lshrrev_b32_e32 v1, 16, v1
	v_add_nc_u32_e32 v4, ttmp9, v1
	s_wait_kmcnt 0x0
	s_delay_alu instid0(VALU_DEP_1)
	v_cmpx_gt_u64_e64 s[8:9], v[4:5]
	s_cbranch_execz .LBB0_15
; %bb.1:
	s_clause 0x1
	s_load_b64 s[20:21], s[0:1], 0x0
	s_load_b64 s[8:9], s[0:1], 0x38
	v_mul_lo_u16 v1, 0x75, v1
	s_delay_alu instid0(VALU_DEP_1) | instskip(NEXT) | instid1(VALU_DEP_1)
	v_sub_nc_u16 v0, v0, v1
	v_and_b32_e32 v26, 0xffff, v0
	v_cmp_gt_u16_e32 vcc_lo, 54, v0
	s_delay_alu instid0(VALU_DEP_2)
	v_lshlrev_b32_e32 v25, 2, v26
	s_and_saveexec_b32 s3, vcc_lo
	s_cbranch_execz .LBB0_3
; %bb.2:
	s_load_b64 s[4:5], s[0:1], 0x18
	s_wait_kmcnt 0x0
	s_load_b128 s[4:7], s[4:5], 0x0
	s_wait_kmcnt 0x0
	v_mad_co_u64_u32 v[0:1], null, s6, v4, 0
	v_mad_co_u64_u32 v[2:3], null, s4, v26, 0
	s_delay_alu instid0(VALU_DEP_1) | instskip(NEXT) | instid1(VALU_DEP_2)
	v_mad_co_u64_u32 v[5:6], null, s7, v4, v[1:2]
	v_mad_co_u64_u32 v[6:7], null, s5, v26, v[3:4]
	s_mul_u64 s[4:5], s[4:5], 0xd8
	s_clause 0xc
	global_load_b32 v7, v25, s[20:21]
	global_load_b32 v8, v25, s[20:21] offset:216
	global_load_b32 v9, v25, s[20:21] offset:432
	;; [unrolled: 1-line block ×12, first 2 shown]
	v_mov_b32_e32 v1, v5
	v_mov_b32_e32 v3, v6
	s_delay_alu instid0(VALU_DEP_2) | instskip(NEXT) | instid1(VALU_DEP_2)
	v_lshlrev_b64_e32 v[0:1], 2, v[0:1]
	v_lshlrev_b64_e32 v[2:3], 2, v[2:3]
	s_delay_alu instid0(VALU_DEP_2) | instskip(NEXT) | instid1(VALU_DEP_1)
	v_add_co_u32 v0, s2, s10, v0
	v_add_co_ci_u32_e64 v1, s2, s11, v1, s2
	s_delay_alu instid0(VALU_DEP_2) | instskip(SKIP_1) | instid1(VALU_DEP_2)
	v_add_co_u32 v0, s2, v0, v2
	s_wait_alu 0xf1ff
	v_add_co_ci_u32_e64 v1, s2, v1, v3, s2
	s_wait_alu 0xfffe
	s_delay_alu instid0(VALU_DEP_2) | instskip(SKIP_1) | instid1(VALU_DEP_2)
	v_add_co_u32 v2, s2, v0, s4
	s_wait_alu 0xf1ff
	v_add_co_ci_u32_e64 v3, s2, s5, v1, s2
	s_clause 0x1
	global_load_b32 v20, v[0:1], off
	global_load_b32 v21, v[2:3], off
	v_add_co_u32 v0, s2, v2, s4
	s_wait_alu 0xf1ff
	v_add_co_ci_u32_e64 v1, s2, s5, v3, s2
	s_delay_alu instid0(VALU_DEP_2) | instskip(SKIP_1) | instid1(VALU_DEP_2)
	v_add_co_u32 v2, s2, v0, s4
	s_wait_alu 0xf1ff
	v_add_co_ci_u32_e64 v3, s2, s5, v1, s2
	s_clause 0x1
	global_load_b32 v22, v[0:1], off
	global_load_b32 v23, v[2:3], off
	v_add_co_u32 v0, s2, v2, s4
	s_wait_alu 0xf1ff
	v_add_co_ci_u32_e64 v1, s2, s5, v3, s2
	s_delay_alu instid0(VALU_DEP_2) | instskip(SKIP_1) | instid1(VALU_DEP_2)
	v_add_co_u32 v2, s2, v0, s4
	s_wait_alu 0xf1ff
	v_add_co_ci_u32_e64 v3, s2, s5, v1, s2
	global_load_b32 v24, v[0:1], off
	global_load_b32 v27, v[2:3], off
	v_add_co_u32 v0, s2, v2, s4
	s_wait_alu 0xf1ff
	v_add_co_ci_u32_e64 v1, s2, s5, v3, s2
	s_delay_alu instid0(VALU_DEP_2) | instskip(SKIP_1) | instid1(VALU_DEP_2)
	v_add_co_u32 v2, s2, v0, s4
	s_wait_alu 0xf1ff
	v_add_co_ci_u32_e64 v3, s2, s5, v1, s2
	global_load_b32 v28, v[0:1], off
	v_add_co_u32 v0, s2, v2, s4
	s_wait_alu 0xf1ff
	v_add_co_ci_u32_e64 v1, s2, s5, v3, s2
	global_load_b32 v29, v[2:3], off
	;; [unrolled: 4-line block ×4, first 2 shown]
	v_add_co_u32 v2, s2, v0, s4
	s_wait_alu 0xf1ff
	v_add_co_ci_u32_e64 v3, s2, s5, v1, s2
	s_delay_alu instid0(VALU_DEP_2) | instskip(SKIP_1) | instid1(VALU_DEP_2)
	v_add_co_u32 v5, s2, v2, s4
	s_wait_alu 0xf1ff
	v_add_co_ci_u32_e64 v6, s2, s5, v3, s2
	global_load_b32 v0, v[0:1], off
	global_load_b32 v1, v[2:3], off
	;; [unrolled: 1-line block ×3, first 2 shown]
	v_add_nc_u32_e32 v3, 0x200, v25
	v_add_nc_u32_e32 v5, 0x400, v25
	s_wait_loadcnt 0x19
	v_lshrrev_b32_e32 v6, 16, v7
	s_wait_loadcnt 0x18
	v_lshrrev_b32_e32 v32, 16, v8
	;; [unrolled: 2-line block ×14, first 2 shown]
	v_mul_f16_e32 v44, v6, v20
	s_wait_loadcnt 0xb
	v_lshrrev_b32_e32 v45, 16, v21
	v_mul_f16_e32 v47, v32, v21
	v_mul_f16_e32 v6, v6, v40
	v_fma_f16 v40, v7, v40, -v44
	s_delay_alu instid0(VALU_DEP_2)
	v_fmac_f16_e32 v6, v7, v20
	v_mul_f16_e32 v7, v32, v45
	v_fma_f16 v32, v8, v45, -v47
	s_wait_loadcnt 0xa
	v_lshrrev_b32_e32 v20, 16, v22
	v_mul_f16_e32 v44, v33, v22
	v_fmac_f16_e32 v7, v8, v21
	s_wait_loadcnt 0x9
	v_lshrrev_b32_e32 v21, 16, v23
	v_pack_b32_f16 v6, v6, v40
	v_mul_f16_e32 v8, v33, v20
	v_mul_f16_e32 v33, v34, v23
	v_fma_f16 v20, v9, v20, -v44
	v_pack_b32_f16 v7, v7, v32
	s_delay_alu instid0(VALU_DEP_4)
	v_fmac_f16_e32 v8, v9, v22
	v_mul_f16_e32 v9, v34, v21
	s_wait_loadcnt 0x8
	v_lshrrev_b32_e32 v22, 16, v24
	v_fma_f16 v21, v10, v21, -v33
	v_mul_f16_e32 v32, v35, v24
	ds_store_2addr_b32 v25, v6, v7 offset1:54
	v_pack_b32_f16 v6, v8, v20
	v_fmac_f16_e32 v9, v10, v23
	v_mul_f16_e32 v7, v35, v22
	s_wait_loadcnt 0x7
	v_lshrrev_b32_e32 v8, 16, v27
	v_mul_f16_e32 v10, v36, v27
	v_fma_f16 v20, v11, v22, -v32
	v_pack_b32_f16 v9, v9, v21
	v_fmac_f16_e32 v7, v11, v24
	v_mul_f16_e32 v11, v36, v8
	v_fma_f16 v8, v12, v8, -v10
	s_wait_loadcnt 0x6
	v_lshrrev_b32_e32 v10, 16, v28
	v_mul_f16_e32 v21, v37, v28
	ds_store_2addr_b32 v25, v6, v9 offset0:108 offset1:162
	v_pack_b32_f16 v6, v7, v20
	v_fmac_f16_e32 v11, v12, v27
	v_mul_f16_e32 v7, v37, v10
	s_wait_loadcnt 0x5
	v_lshrrev_b32_e32 v9, 16, v29
	v_fma_f16 v10, v13, v10, -v21
	v_mul_f16_e32 v12, v38, v29
	v_pack_b32_f16 v8, v11, v8
	v_fmac_f16_e32 v7, v13, v28
	s_wait_loadcnt 0x4
	v_lshrrev_b32_e32 v13, 16, v30
	v_mul_f16_e32 v11, v38, v9
	v_fma_f16 v9, v14, v9, -v12
	v_mul_f16_e32 v12, v39, v30
	v_pack_b32_f16 v7, v7, v10
	v_mul_f16_e32 v10, v39, v13
	v_fmac_f16_e32 v11, v14, v29
	s_wait_loadcnt 0x3
	v_lshrrev_b32_e32 v14, 16, v31
	v_mul_f16_e32 v20, v41, v31
	v_fma_f16 v12, v15, v13, -v12
	v_fmac_f16_e32 v10, v15, v30
	v_pack_b32_f16 v9, v11, v9
	v_mul_f16_e32 v11, v41, v14
	v_fma_f16 v13, v16, v14, -v20
	s_wait_loadcnt 0x2
	v_lshrrev_b32_e32 v14, 16, v0
	v_mul_f16_e32 v15, v42, v0
	v_pack_b32_f16 v10, v10, v12
	s_wait_loadcnt 0x1
	v_lshrrev_b32_e32 v12, 16, v1
	v_fmac_f16_e32 v11, v16, v31
	s_wait_loadcnt 0x0
	v_lshrrev_b32_e32 v16, 16, v2
	v_mul_f16_e32 v20, v42, v14
	v_fma_f16 v14, v17, v14, -v15
	v_mul_f16_e32 v15, v43, v1
	v_mul_f16_e32 v21, v43, v12
	;; [unrolled: 1-line block ×4, first 2 shown]
	v_fmac_f16_e32 v20, v17, v0
	v_fma_f16 v0, v18, v12, -v15
	v_fmac_f16_e32 v21, v18, v1
	v_fmac_f16_e32 v22, v19, v2
	v_fma_f16 v1, v19, v16, -v23
	v_pack_b32_f16 v2, v11, v13
	v_pack_b32_f16 v11, v20, v14
	;; [unrolled: 1-line block ×3, first 2 shown]
	v_add_nc_u32_e32 v12, 0x800, v25
	v_pack_b32_f16 v1, v22, v1
	ds_store_2addr_b32 v3, v6, v8 offset0:88 offset1:142
	ds_store_2addr_b32 v5, v7, v9 offset0:68 offset1:122
	;; [unrolled: 1-line block ×4, first 2 shown]
	ds_store_b32 v25, v1 offset:2592
.LBB0_3:
	s_or_b32 exec_lo, exec_lo, s3
	s_clause 0x1
	s_load_b64 s[2:3], s[0:1], 0x20
	s_load_b64 s[4:5], s[0:1], 0x8
	v_mov_b32_e32 v0, 0
                                        ; kill: def $vgpr1 killed $sgpr0 killed $exec
	global_wb scope:SCOPE_SE
	s_wait_dscnt 0x0
	s_wait_kmcnt 0x0
	s_barrier_signal -1
	s_barrier_wait -1
	global_inv scope:SCOPE_SE
                                        ; implicit-def: $vgpr12
                                        ; implicit-def: $vgpr9
                                        ; implicit-def: $vgpr14
                                        ; implicit-def: $vgpr2
                                        ; implicit-def: $vgpr16
                                        ; implicit-def: $vgpr17
	s_and_saveexec_b32 s0, vcc_lo
	s_cbranch_execz .LBB0_5
; %bb.4:
	v_add_nc_u32_e32 v2, 0x200, v25
	v_add_nc_u32_e32 v3, 0x400, v25
	;; [unrolled: 1-line block ×3, first 2 shown]
	ds_load_2addr_b32 v[0:1], v25 offset1:54
	ds_load_2addr_b32 v[15:16], v25 offset0:108 offset1:162
	ds_load_2addr_b32 v[13:14], v2 offset0:88 offset1:142
	;; [unrolled: 1-line block ×5, first 2 shown]
	ds_load_b32 v17, v25 offset:2592
.LBB0_5:
	s_wait_alu 0xfffe
	s_or_b32 exec_lo, exec_lo, s0
	s_wait_dscnt 0x0
	v_pk_add_f16 v7, v1, v17 neg_lo:[0,1] neg_hi:[0,1]
	v_pk_add_f16 v30, v15, v3 neg_lo:[0,1] neg_hi:[0,1]
	v_pk_add_f16 v40, v17, v1
	v_pk_add_f16 v74, v16, v2 neg_lo:[0,1] neg_hi:[0,1]
	v_pk_add_f16 v56, v3, v15
	v_lshrrev_b32_e32 v5, 16, v7
	v_pk_add_f16 v83, v13, v10 neg_lo:[0,1] neg_hi:[0,1]
	v_pk_add_f16 v59, v2, v16
	v_lshrrev_b32_e32 v69, 16, v74
	v_pk_add_f16 v64, v10, v13
	v_mul_f16_e32 v18, 0xb770, v5
	v_mul_f16_e32 v20, 0xba95, v5
	;; [unrolled: 1-line block ×5, first 2 shown]
	v_lshrrev_b32_e32 v5, 16, v30
	v_fmamk_f16 v28, v40, 0x388b, v20
	v_fmamk_f16 v29, v40, 0x2fb7, v36
	v_mul_f16_e32 v27, 0xb3a8, v69
	v_mul_f16_e32 v47, 0x3b7b, v69
	;; [unrolled: 1-line block ×4, first 2 shown]
	v_lshrrev_b32_e32 v89, 16, v83
	v_add_f16_e32 v28, v28, v0
	v_add_f16_e32 v29, v29, v0
	v_fmamk_f16 v46, v56, 0xb5ac, v24
	v_fmamk_f16 v63, v56, 0xbbc4, v42
	v_mul_f16_e32 v19, 0xba95, v5
	v_mul_f16_e32 v48, 0x394e, v5
	v_mul_f16_e32 v62, 0x3bf1, v5
	v_fmamk_f16 v5, v59, 0xbbc4, v27
	v_fmamk_f16 v71, v59, 0xb5ac, v47
	v_pk_add_f16 v97, v14, v9 neg_lo:[0,1] neg_hi:[0,1]
	v_mul_f16_e32 v51, 0x3770, v89
	v_add_f16_e32 v28, v46, v28
	v_add_f16_e32 v29, v63, v29
	v_lshrrev_b32_e32 v53, 16, v40
	v_mul_f16_e32 v22, 0xba95, v7
	v_mul_f16_e32 v39, 0x394e, v89
	v_lshrrev_b32_e32 v98, 16, v97
	v_fmamk_f16 v86, v64, 0x3b15, v51
	v_pk_add_f16 v106, v11, v12 neg_lo:[0,1] neg_hi:[0,1]
	v_add_f16_e32 v5, v5, v28
	v_add_f16_e32 v28, v71, v29
	v_mul_f16_e32 v38, 0xbbf1, v7
	v_fma_f16 v8, v53, 0x388b, -v22
	v_fmamk_f16 v31, v40, 0xb5ac, v43
	v_lshrrev_b32_e32 v57, 16, v56
	v_mul_f16_e32 v37, 0xbb7b, v30
	v_mul_f16_e32 v21, 0xbbf1, v69
	;; [unrolled: 1-line block ×3, first 2 shown]
	v_fmamk_f16 v73, v64, 0xb9fd, v39
	v_pk_add_f16 v65, v9, v14
	v_mul_f16_e32 v49, 0x3bf1, v98
	v_mul_f16_e32 v58, 0xba95, v98
	v_lshrrev_b32_e32 v101, 16, v106
	v_add_f16_e32 v28, v86, v28
	v_mul_f16_e32 v86, 0xba95, v69
	v_lshrrev_b32_e32 v69, 16, v0
	v_fma_f16 v23, v53, 0x2fb7, -v38
	v_fmamk_f16 v6, v40, 0x3b15, v18
	v_fmamk_f16 v33, v40, 0xb9fd, v54
	v_fma_f16 v72, v57, 0xb5ac, -v37
	v_fmamk_f16 v76, v56, 0xb9fd, v48
	v_fmamk_f16 v87, v65, 0x2fb7, v49
	;; [unrolled: 1-line block ×3, first 2 shown]
	v_pk_add_f16 v71, v12, v11
	v_mul_f16_e32 v46, 0x3770, v101
	v_mul_f16_e32 v63, 0xb94e, v101
	v_add_f16_e32 v5, v73, v5
	v_add_f16_e32 v8, v8, v69
	;; [unrolled: 1-line block ×3, first 2 shown]
	v_mul_f16_e32 v45, 0xbb7b, v7
	v_fmamk_f16 v70, v56, 0x388b, v19
	v_mul_f16_e32 v44, 0xb3a8, v30
	v_fmamk_f16 v77, v56, 0x2fb7, v62
	v_fmamk_f16 v85, v59, 0x3b15, v52
	;; [unrolled: 1-line block ×4, first 2 shown]
	v_add_f16_e32 v5, v87, v5
	v_add_f16_e32 v28, v88, v28
	v_mul_f16_e32 v73, 0xbbf1, v89
	v_add_f16_e32 v87, v6, v0
	v_add_f16_e32 v33, v33, v0
	;; [unrolled: 1-line block ×5, first 2 shown]
	v_fma_f16 v32, v53, 0xb5ac, -v45
	v_mul_f16_e32 v60, 0xb94e, v7
	v_mul_f16_e32 v34, 0xb3a8, v7
	v_fma_f16 v75, v57, 0xbbc4, -v44
	v_mul_f16_e32 v55, 0x394e, v30
	v_add_f16_e32 v6, v29, v5
	v_add_f16_e32 v5, v90, v28
	v_fmamk_f16 v28, v59, 0x388b, v86
	v_add_f16_e32 v29, v70, v87
	v_fmamk_f16 v70, v64, 0x2fb7, v73
	v_mul_f16_e32 v92, 0x33a8, v89
	v_mul_f16_e32 v76, 0x33a8, v98
	v_add_f16_e32 v31, v77, v33
	v_add_f16_e32 v23, v85, v23
	v_fma_f16 v35, v53, 0xb9fd, -v60
	v_fma_f16 v68, v53, 0xbbc4, -v34
	;; [unrolled: 1-line block ×3, first 2 shown]
	v_lshrrev_b32_e32 v61, 16, v59
	v_mul_f16_e32 v66, 0x3770, v74
	v_mul_f16_e32 v90, 0x3770, v98
	v_add_f16_e32 v33, v75, v8
	v_fmamk_f16 v8, v64, 0xbbc4, v92
	v_fmamk_f16 v75, v65, 0xbbc4, v76
	v_add_f16_e32 v28, v28, v31
	v_add_f16_e32 v32, v32, v69
	;; [unrolled: 1-line block ×3, first 2 shown]
	v_mul_f16_e32 v77, 0x3a95, v101
	v_pk_mul_f16 v85, 0xb3a8b770, v7
	v_mul_f16_e32 v67, 0x3bf1, v30
	v_mul_f16_e32 v78, 0x3770, v30
	v_fmamk_f16 v82, v59, 0x2fb7, v21
	v_mul_f16_e32 v50, 0x3b7b, v74
	v_fmamk_f16 v31, v65, 0x3b15, v90
	v_add_f16_e32 v7, v8, v28
	v_mul_f16_e32 v88, 0xbb7b, v101
	v_add_f16_e32 v28, v79, v32
	v_fmamk_f16 v8, v71, 0x388b, v77
	v_add_f16_e32 v23, v75, v23
	v_pk_fma_f16 v32, 0x3b15bbc4, v40, v85 op_sel:[0,0,1] op_sel_hi:[1,1,0] neg_lo:[0,0,1] neg_hi:[0,0,1]
	v_pk_mul_f16 v87, 0x3770ba95, v30
	v_add_f16_e32 v30, v35, v69
	v_add_f16_e32 v35, v68, v69
	v_fma_f16 v70, v61, 0x3b15, -v66
	v_mul_f16_e32 v68, 0xbb7b, v89
	v_fma_f16 v80, v57, 0x2fb7, -v67
	v_mul_f16_e32 v41, 0xb3a8, v74
	;; [unrolled: 2-line block ×3, first 2 shown]
	v_add_f16_e32 v7, v31, v7
	v_fmamk_f16 v31, v71, 0xb5ac, v88
	v_pk_add_f16 v32, v32, v0
	v_add_f16_e32 v8, v8, v23
	v_pk_fma_f16 v23, 0x388b3b15, v56, v87 op_sel:[0,0,1] op_sel_hi:[1,1,0] neg_lo:[0,0,1] neg_hi:[0,0,1]
	v_add_f16_e32 v29, v82, v29
	v_pk_mul_f16 v91, 0xb94ebbf1, v74
	v_lshrrev_b32_e32 v94, 16, v64
	v_add_f16_e32 v28, v70, v28
	v_fmamk_f16 v70, v64, 0xb5ac, v68
	v_mul_f16_e32 v82, 0x3770, v83
	v_fma_f16 v81, v57, 0x3b15, -v78
	v_fma_f16 v84, v61, 0xbbc4, -v41
	v_add_f16_e32 v7, v31, v7
	v_mul_f16_e32 v31, 0xb94e, v74
	v_add_f16_e32 v30, v80, v30
	v_pk_add_f16 v23, v23, v32
	v_fma_f16 v32, v61, 0x388b, -v96
	v_mul_f16_e32 v74, 0x394e, v83
	v_add_f16_e32 v33, v93, v33
	v_pk_fma_f16 v79, 0x2fb7b9fd, v59, v91 op_sel:[0,0,1] op_sel_hi:[1,1,0] neg_lo:[0,0,1] neg_hi:[0,0,1]
	v_add_f16_e32 v29, v70, v29
	v_fma_f16 v70, v94, 0x3b15, -v82
	v_pk_mul_f16 v93, 0x3a95bb7b, v83
	v_add_f16_e32 v35, v81, v35
	v_fma_f16 v75, v61, 0xb9fd, -v31
	v_add_f16_e32 v72, v84, v72
	v_add_f16_e32 v30, v32, v30
	v_pk_add_f16 v23, v79, v23
	v_mul_f16_e32 v95, 0xbbf1, v83
	v_fma_f16 v32, v94, 0xb9fd, -v74
	v_mul_f16_e32 v102, 0x33a8, v83
	v_add_f16_e32 v33, v70, v33
	v_pk_fma_f16 v79, 0xb5ac388b, v64, v93 op_sel:[0,0,1] op_sel_hi:[1,1,0] neg_lo:[0,0,1] neg_hi:[0,0,1]
	v_mul_f16_e32 v70, 0xb94e, v98
	v_add_f16_e32 v35, v75, v35
	v_fma_f16 v75, v94, 0x2fb7, -v95
	v_add_f16_e32 v32, v32, v72
	v_fma_f16 v72, v94, 0xbbc4, -v102
	v_mul_f16_e32 v83, 0x3a95, v83
	v_lshrrev_b32_e32 v99, 16, v65
	v_pk_add_f16 v23, v79, v23
	v_fmamk_f16 v79, v65, 0xb9fd, v70
	v_mul_f16_e32 v100, 0x33a8, v97
	v_add_f16_e32 v28, v75, v28
	v_add_f16_e32 v30, v72, v30
	v_fma_f16 v72, v94, 0x388b, -v83
	v_mul_f16_e32 v89, 0xba95, v97
	v_add_f16_e32 v29, v79, v29
	v_fma_f16 v79, v99, 0xbbc4, -v100
	v_mul_f16_e32 v104, 0x3770, v97
	v_mul_f16_e32 v75, 0x3bf1, v97
	v_add_f16_e32 v35, v72, v35
	v_fma_f16 v72, v99, 0x388b, -v89
	v_mul_f16_e32 v84, 0xbb7b, v97
	v_add_f16_e32 v28, v79, v28
	v_fma_f16 v79, v99, 0x3b15, -v104
	v_fma_f16 v80, v99, 0x2fb7, -v75
	v_pk_mul_f16 v98, 0xbb7bb94e, v97
	v_add_f16_e32 v33, v72, v33
	v_fma_f16 v81, v99, 0xb5ac, -v84
	v_mul_f16_e32 v72, 0xb3a8, v101
	v_pk_fma_f16 v97, 0x3b15bbc4, v40, v85 op_sel:[0,0,1] op_sel_hi:[1,1,0]
	v_add_f16_e32 v107, v79, v30
	v_mul_f16_e32 v79, 0x3b15, v57
	v_add_f16_e32 v32, v80, v32
	v_pk_fma_f16 v80, 0xb9fdb5ac, v65, v98 op_sel:[0,0,1] op_sel_hi:[1,1,0] neg_lo:[0,0,1] neg_hi:[0,0,1]
	v_add_f16_e32 v108, v81, v35
	v_fmamk_f16 v30, v71, 0xbbc4, v72
	v_pack_b32_f16 v35, v78, v97
	v_fmamk_f16 v34, v53, 0xbbc4, v34
	v_pk_mul_f16 v78, 0x388b3b15, v56
	v_lshrrev_b32_e32 v101, 16, v71
	v_mul_f16_e32 v81, 0x3770, v106
	v_perm_b32 v79, v0, v79, 0x5040100
	v_pk_add_f16 v23, v80, v23
	v_add_f16_e32 v29, v30, v29
	v_pack_b32_f16 v30, v34, v78
	v_perm_b32 v34, v87, v0, 0x7060302
	v_fma_f16 v80, v101, 0x3b15, -v81
	v_pk_add_f16 v35, v35, v79
	v_pk_mul_f16 v79, 0x2fb7b9fd, v59
	v_mul_f16_e32 v103, 0xb9fd, v61
	v_mul_f16_e32 v97, 0xb94e, v106
	v_pk_add_f16 v34, v30, v34
	v_add_f16_e32 v30, v80, v32
	v_pack_b32_f16 v31, v31, v79
	v_bfi_b32 v32, 0xffff, v103, v91
	v_pk_mul_f16 v80, 0xb5ac388b, v64
	v_mul_f16_e32 v103, 0x388b, v94
	v_fma_f16 v105, v101, 0xb9fd, -v97
	v_pk_add_f16 v34, v34, v35
	v_pk_add_f16 v32, v31, v32
	v_pack_b32_f16 v35, v83, v80
	v_bfi_b32 v103, 0xffff, v103, v93
	v_add_f16_e32 v31, v105, v33
	v_pk_mul_f16 v83, 0xb9fdb5ac, v65
	v_mul_f16_e32 v33, 0xb5ac, v99
	v_pk_add_f16 v32, v32, v34
	v_pk_add_f16 v34, v35, v103
	v_pk_mul_f16 v105, 0x3bf1b3a8, v106
	v_pack_b32_f16 v35, v84, v83
	v_bfi_b32 v33, 0xffff, v33, v98
	v_mul_f16_e32 v109, 0x3bf1, v106
	v_mul_f16_e32 v110, 0x2fb7, v101
	v_pk_mul_f16 v84, 0xbbc42fb7, v71
	v_mul_f16_e32 v103, 0x3a95, v106
	v_pk_add_f16 v32, v34, v32
	v_mul_f16_e32 v106, 0xbb7b, v106
	v_pk_add_f16 v33, v35, v33
	v_bfi_b32 v34, 0xffff, v110, v105
	v_pack_b32_f16 v35, v109, v84
	v_fma_f16 v110, v101, 0x388b, -v103
	v_fma_f16 v111, v101, 0xb5ac, -v106
	v_pk_add_f16 v112, v33, v32
	v_pk_fma_f16 v113, 0xbbc42fb7, v71, v105 op_sel:[0,0,1] op_sel_hi:[1,1,0] neg_lo:[0,0,1] neg_hi:[0,0,1]
	v_pk_add_f16 v34, v35, v34
	v_fma_f16 v109, v101, 0x2fb7, -v109
	v_add_f16_e32 v32, v110, v28
	v_add_f16_e32 v33, v111, v107
	v_pk_add_f16 v23, v113, v23
	v_pk_add_f16 v35, v34, v112
	v_add_f16_e32 v34, v109, v108
	v_mul_lo_u16 v28, v26, 13
	global_wb scope:SCOPE_SE
	s_barrier_signal -1
	s_barrier_wait -1
	global_inv scope:SCOPE_SE
	s_and_saveexec_b32 s0, vcc_lo
	s_cbranch_execz .LBB0_7
; %bb.6:
	v_mul_f16_e32 v107, 0xb9fd, v53
	v_mul_f16_e32 v114, 0xb9fd, v40
	;; [unrolled: 1-line block ×5, first 2 shown]
	v_add_f16_e32 v60, v60, v107
	v_mul_f16_e32 v107, 0x2fb7, v57
	v_sub_f16_e32 v54, v114, v54
	v_mul_f16_e32 v109, 0x388b, v40
	v_pk_add_f16 v1, v1, v0
	v_add_f16_e32 v60, v60, v69
	v_add_f16_e32 v67, v67, v107
	v_mul_f16_e32 v107, 0x388b, v61
	v_add_f16_e32 v54, v54, v0
	v_sub_f16_e32 v20, v109, v20
	v_sub_f16_e32 v24, v116, v24
	v_add_f16_e32 v60, v67, v60
	v_add_f16_e32 v67, v96, v107
	v_mul_f16_e32 v107, 0xbbc4, v56
	v_mul_f16_e32 v56, 0x2fb7, v56
	v_add_f16_e32 v20, v20, v0
	v_pk_add_f16 v1, v15, v1
	v_add_f16_e32 v60, v67, v60
	v_mul_f16_e32 v67, 0xbbc4, v94
	v_sub_f16_e32 v56, v56, v62
	v_mul_f16_e32 v62, 0x388b, v59
	v_mul_f16_e32 v108, 0x3b15, v40
	;; [unrolled: 1-line block ×3, first 2 shown]
	v_add_f16_e32 v67, v102, v67
	v_add_f16_e32 v54, v56, v54
	v_sub_f16_e32 v56, v62, v86
	v_mul_f16_e32 v113, 0xb5ac, v40
	v_pk_mul_f16 v40, 0x3b15bbc4, v40
	v_add_f16_e32 v60, v67, v60
	v_mul_f16_e32 v67, 0xbbc4, v59
	v_add_f16_e32 v54, v56, v54
	v_mul_f16_e32 v56, 0xb5ac, v101
	v_add_f16_e32 v20, v24, v20
	v_pk_add_f16 v1, v16, v1
	v_sub_f16_e32 v24, v67, v27
	v_mul_f16_e32 v102, 0x3b15, v99
	v_add_f16_e32 v56, v106, v56
	v_mul_f16_e32 v106, 0xb9fd, v64
	v_mul_f16_e32 v110, 0x388b, v53
	;; [unrolled: 1-line block ×4, first 2 shown]
	v_alignbit_b32 v85, v85, v85, 16
	v_add_f16_e32 v20, v24, v20
	v_sub_f16_e32 v24, v106, v39
	v_bfi_b32 v18, 0xffff, v18, v40
	v_pk_add_f16 v1, v13, v1
	v_add_f16_e32 v102, v104, v102
	v_mul_f16_e32 v96, 0xb5ac, v57
	v_mul_f16_e32 v117, 0xbbc4, v57
	;; [unrolled: 1-line block ×3, first 2 shown]
	v_add_f16_e32 v45, v45, v53
	v_alignbit_b32 v87, v87, v87, 16
	v_add_f16_e32 v20, v24, v20
	v_bfi_b32 v19, 0xffff, v19, v78
	v_pk_add_f16 v18, v108, v18 neg_lo:[0,1] neg_hi:[0,1]
	v_pk_add_f16 v24, v85, v40
	v_pk_add_f16 v1, v14, v1
	v_add_f16_e32 v60, v102, v60
	v_mul_f16_e32 v102, 0xbbc4, v64
	v_add_f16_e32 v38, v38, v112
	v_sub_f16_e32 v36, v111, v36
	v_add_f16_e32 v22, v22, v110
	v_sub_f16_e32 v43, v113, v43
	v_mul_f16_e32 v114, 0x2fb7, v59
	v_mul_f16_e32 v104, 0xbbc4, v61
	;; [unrolled: 1-line block ×4, first 2 shown]
	v_add_f16_e32 v55, v55, v57
	v_add_f16_e32 v45, v45, v69
	v_alignbit_b32 v91, v91, v91, 16
	v_pk_add_f16 v19, v115, v19 neg_lo:[0,1] neg_hi:[0,1]
	v_pk_add_f16 v14, v87, v78
	v_bfi_b32 v21, 0xffff, v21, v79
	v_bfi_b32 v18, 0xffff, v18, v24
	v_pk_add_f16 v1, v11, v1
	v_mul_f16_e32 v62, 0xb5ac, v59
	v_sub_f16_e32 v92, v102, v92
	v_mul_f16_e32 v53, 0x3b15, v65
	v_add_f16_e32 v38, v38, v69
	v_add_f16_e32 v44, v44, v117
	;; [unrolled: 1-line block ×3, first 2 shown]
	v_sub_f16_e32 v42, v107, v42
	v_add_f16_e32 v22, v22, v69
	v_add_f16_e32 v37, v37, v96
	v_mul_f16_e32 v59, 0x3b15, v59
	v_sub_f16_e32 v48, v118, v48
	v_add_f16_e32 v43, v43, v0
	v_mul_f16_e32 v102, 0xb5ac, v64
	v_add_f16_e32 v45, v55, v45
	v_add_f16_e32 v61, v66, v61
	v_alignbit_b32 v93, v93, v93, 16
	v_bfi_b32 v24, 0xffff, v68, v80
	v_bfi_b32 v11, 0xffff, v19, v14
	v_pk_add_f16 v14, v114, v21 neg_lo:[0,1] neg_hi:[0,1]
	v_pk_add_f16 v19, v91, v79
	v_pk_add_f16 v1, v12, v1
	;; [unrolled: 1-line block ×3, first 2 shown]
	v_add_f16_e32 v54, v92, v54
	v_mul_f16_e32 v92, 0xb9fd, v94
	v_mul_f16_e32 v57, 0x3b15, v64
	v_sub_f16_e32 v53, v53, v90
	v_mul_f16_e32 v90, 0x3b15, v94
	v_mul_f16_e32 v94, 0x2fb7, v94
	v_add_f16_e32 v38, v44, v38
	v_add_f16_e32 v44, v50, v86
	;; [unrolled: 1-line block ×3, first 2 shown]
	v_sub_f16_e32 v42, v62, v47
	v_add_f16_e32 v22, v37, v22
	v_add_f16_e32 v37, v41, v104
	v_mul_f16_e32 v64, 0x2fb7, v64
	v_add_f16_e32 v43, v48, v43
	v_sub_f16_e32 v48, v59, v52
	v_mul_f16_e32 v55, 0xb9fd, v65
	v_add_f16_e32 v45, v61, v45
	v_mul_f16_e32 v61, 0xb5ac, v71
	v_alignbit_b32 v98, v98, v98, 16
	v_pk_add_f16 v21, v102, v24 neg_lo:[0,1] neg_hi:[0,1]
	v_pk_add_f16 v12, v93, v80
	v_bfi_b32 v18, 0xffff, v70, v83
	v_bfi_b32 v14, 0xffff, v14, v19
	v_pk_add_f16 v1, v9, v1
	v_pk_add_f16 v0, v11, v0
	v_mul_f16_e32 v66, 0x2fb7, v65
	v_add_f16_e32 v56, v56, v60
	v_mul_f16_e32 v60, 0x2fb7, v99
	v_add_f16_e32 v53, v53, v54
	;; [unrolled: 2-line block ×3, first 2 shown]
	v_mul_f16_e32 v95, 0x388b, v99
	v_mul_f16_e32 v99, 0xbbc4, v99
	v_add_f16_e32 v38, v44, v38
	v_add_f16_e32 v44, v82, v90
	;; [unrolled: 1-line block ×3, first 2 shown]
	v_sub_f16_e32 v42, v57, v51
	v_add_f16_e32 v22, v37, v22
	v_add_f16_e32 v37, v74, v92
	v_mul_f16_e32 v65, 0xbbc4, v65
	v_add_f16_e32 v43, v48, v43
	v_sub_f16_e32 v48, v64, v73
	v_sub_f16_e32 v61, v61, v88
	v_mul_f16_e32 v88, 0xbbc4, v71
	v_alignbit_b32 v105, v105, v105, 16
	v_bfi_b32 v9, 0xffff, v21, v12
	v_pk_add_f16 v11, v55, v18 neg_lo:[0,1] neg_hi:[0,1]
	v_pk_add_f16 v12, v98, v83
	v_pk_add_f16 v1, v10, v1
	;; [unrolled: 1-line block ×3, first 2 shown]
	v_bfi_b32 v10, 0xffff, v72, v84
	v_add_f16_e32 v45, v94, v45
	v_mul_f16_e32 v94, 0x3b15, v71
	v_add_f16_e32 v99, v100, v99
	v_mul_f16_e32 v100, 0x3b15, v101
	v_mul_f16_e32 v113, 0xb9fd, v71
	;; [unrolled: 1-line block ×3, first 2 shown]
	v_add_f16_e32 v38, v44, v38
	v_add_f16_e32 v44, v89, v95
	;; [unrolled: 1-line block ×3, first 2 shown]
	v_sub_f16_e32 v42, v54, v58
	v_add_f16_e32 v22, v37, v22
	v_add_f16_e32 v27, v75, v60
	v_sub_f16_e32 v13, v66, v49
	v_mul_f16_e32 v71, 0x388b, v71
	v_mul_f16_e32 v101, 0x388b, v101
	v_add_f16_e32 v43, v48, v43
	v_sub_f16_e32 v48, v65, v76
	v_bfi_b32 v11, 0xffff, v11, v12
	v_pk_add_f16 v1, v2, v1
	v_pk_add_f16 v0, v9, v0
	v_pk_add_f16 v2, v88, v10 neg_lo:[0,1] neg_hi:[0,1]
	v_pk_add_f16 v9, v105, v84
	v_add_f16_e32 v38, v44, v38
	v_add_f16_e32 v44, v97, v118
	v_add_f16_e32 v36, v42, v36
	v_sub_f16_e32 v41, v113, v63
	v_add_f16_e32 v22, v27, v22
	v_add_f16_e32 v16, v81, v100
	v_add_f16_e32 v13, v13, v20
	v_sub_f16_e32 v10, v94, v46
	v_add_f16_e32 v45, v99, v45
	v_add_f16_e32 v52, v103, v101
	v_add_f16_e32 v43, v48, v43
	v_sub_f16_e32 v48, v71, v77
	v_and_b32_e32 v12, 0xffff, v28
	v_pk_add_f16 v1, v3, v1
	v_pk_add_f16 v0, v11, v0
	v_bfi_b32 v2, 0xffff, v2, v9
	v_add_f16_e32 v38, v44, v38
	v_add_f16_e32 v15, v41, v36
	;; [unrolled: 1-line block ×7, first 2 shown]
	v_lshlrev_b32_e32 v10, 2, v12
	v_pk_add_f16 v1, v17, v1
	v_pk_add_f16 v0, v2, v0
	v_pack_b32_f16 v2, v15, v38
	v_pack_b32_f16 v3, v9, v3
	v_pack_b32_f16 v9, v53, v56
	v_pack_b32_f16 v11, v43, v45
	v_perm_b32 v12, v35, v23, 0x5040100
	v_alignbit_b32 v13, v34, v35, 16
	v_perm_b32 v14, v32, v8, 0x5040100
	v_perm_b32 v15, v33, v7, 0x5040100
	;; [unrolled: 1-line block ×4, first 2 shown]
	v_bfi_b32 v18, 0xffff, v29, v23
	ds_store_2addr_b32 v10, v1, v0 offset1:1
	ds_store_2addr_b32 v10, v3, v2 offset0:2 offset1:3
	ds_store_2addr_b32 v10, v11, v9 offset0:4 offset1:5
	;; [unrolled: 1-line block ×5, first 2 shown]
	ds_store_b32 v10, v18 offset:48
.LBB0_7:
	s_wait_alu 0xfffe
	s_or_b32 exec_lo, exec_lo, s0
	v_and_b32_e32 v0, 0xff, v26
	v_add_co_u32 v19, null, 0x75, v26
	s_load_b128 s[0:3], s[2:3], 0x0
	global_wb scope:SCOPE_SE
	s_wait_dscnt 0x0
	v_mul_lo_u16 v1, 0x4f, v0
	v_and_b32_e32 v2, 0xff, v19
	s_wait_kmcnt 0x0
	s_barrier_signal -1
	s_barrier_wait -1
	global_inv scope:SCOPE_SE
	v_lshrrev_b16 v15, 10, v1
	v_mul_lo_u16 v1, 0x4f, v2
	v_mul_lo_u16 v0, 0xa5, v0
	s_delay_alu instid0(VALU_DEP_3) | instskip(NEXT) | instid1(VALU_DEP_3)
	v_mul_lo_u16 v2, v15, 13
	v_lshrrev_b16 v16, 10, v1
	s_delay_alu instid0(VALU_DEP_3) | instskip(SKIP_1) | instid1(VALU_DEP_4)
	v_lshrrev_b16 v20, 8, v0
	v_and_b32_e32 v15, 0xffff, v15
	v_sub_nc_u16 v1, v26, v2
	s_delay_alu instid0(VALU_DEP_4) | instskip(SKIP_1) | instid1(VALU_DEP_4)
	v_mul_lo_u16 v2, v16, 13
	v_and_b32_e32 v16, 0xffff, v16
	v_mul_u32_u24_e32 v15, 39, v15
	s_delay_alu instid0(VALU_DEP_4) | instskip(NEXT) | instid1(VALU_DEP_4)
	v_and_b32_e32 v17, 0xff, v1
	v_sub_nc_u16 v1, v19, v2
	s_delay_alu instid0(VALU_DEP_4) | instskip(SKIP_1) | instid1(VALU_DEP_4)
	v_mul_u32_u24_e32 v16, 39, v16
	v_lshlrev_b32_e32 v19, 3, v19
	v_lshlrev_b32_e32 v2, 3, v17
	s_delay_alu instid0(VALU_DEP_4)
	v_and_b32_e32 v18, 0xff, v1
	v_add_lshl_u32 v36, v15, v17, 2
	global_load_b64 v[9:10], v2, s[4:5]
	v_lshlrev_b32_e32 v1, 3, v18
	v_add_lshl_u32 v37, v16, v18, 2
	global_load_b64 v[11:12], v1, s[4:5]
	v_and_b32_e32 v1, 0xffff, v26
	v_sub_nc_u16 v2, v26, v20
	s_delay_alu instid0(VALU_DEP_2) | instskip(NEXT) | instid1(VALU_DEP_2)
	v_lshlrev_b32_e32 v27, 2, v1
	v_lshrrev_b16 v21, 1, v2
	s_delay_alu instid0(VALU_DEP_2) | instskip(NEXT) | instid1(VALU_DEP_2)
	v_add_nc_u32_e32 v24, 0x200, v27
	v_and_b32_e32 v21, 0x7f, v21
	v_add_nc_u32_e32 v59, 0x600, v27
	ds_load_2addr_b32 v[0:1], v27 offset1:117
	ds_load_2addr_b32 v[2:3], v24 offset0:106 offset1:223
	ds_load_2addr_b32 v[13:14], v59 offset0:84 offset1:201
	v_add_nc_u16 v20, v21, v20
	global_wb scope:SCOPE_SE
	s_wait_loadcnt_dscnt 0x0
	s_barrier_signal -1
	s_barrier_wait -1
	global_inv scope:SCOPE_SE
	v_lshrrev_b16 v20, 5, v20
	s_delay_alu instid0(VALU_DEP_1) | instskip(NEXT) | instid1(VALU_DEP_1)
	v_and_b32_e32 v20, 7, v20
	v_mul_lo_u16 v39, v20, 39
	v_lshrrev_b32_e32 v21, 16, v0
	v_lshrrev_b32_e32 v22, 16, v1
	v_lshrrev_b32_e32 v15, 16, v2
	v_lshrrev_b32_e32 v17, 16, v13
	v_sub_nc_u16 v16, v26, v39
	v_lshrrev_b32_e32 v38, 16, v3
	v_lshrrev_b32_e32 v44, 16, v14
	v_and_b32_e32 v20, 0xffff, v20
	s_delay_alu instid0(VALU_DEP_4) | instskip(NEXT) | instid1(VALU_DEP_2)
	v_and_b32_e32 v39, 0xff, v16
	v_mul_u32_u24_e32 v20, 0xea, v20
	v_lshrrev_b32_e32 v40, 16, v9
	v_lshrrev_b32_e32 v41, 16, v10
	s_delay_alu instid0(VALU_DEP_2) | instskip(SKIP_1) | instid1(VALU_DEP_3)
	v_mul_f16_e32 v16, v15, v40
	v_mul_f16_e32 v18, v2, v40
	;; [unrolled: 1-line block ×4, first 2 shown]
	v_lshrrev_b32_e32 v43, 16, v11
	v_lshrrev_b32_e32 v42, 16, v12
	v_fma_f16 v2, v2, v9, -v16
	v_fmac_f16_e32 v18, v15, v9
	v_fma_f16 v13, v13, v10, -v45
	v_mul_f16_e32 v15, v38, v43
	v_mul_f16_e32 v16, v3, v43
	;; [unrolled: 1-line block ×4, first 2 shown]
	v_fmac_f16_e32 v46, v17, v10
	v_fma_f16 v3, v3, v11, -v15
	v_fmac_f16_e32 v16, v38, v11
	v_fma_f16 v14, v14, v12, -v45
	v_fmac_f16_e32 v47, v44, v12
	v_add_f16_e32 v15, v0, v2
	v_sub_f16_e32 v38, v18, v46
	v_add_f16_e32 v44, v21, v18
	v_add_f16_e32 v18, v18, v46
	;; [unrolled: 1-line block ×3, first 2 shown]
	v_sub_f16_e32 v2, v2, v13
	v_add_f16_e32 v13, v15, v13
	v_add_f16_e32 v15, v44, v46
	v_fmac_f16_e32 v21, -0.5, v18
	v_add_f16_e32 v18, v3, v14
	v_sub_f16_e32 v44, v16, v47
	v_add_f16_e32 v45, v22, v16
	v_add_f16_e32 v16, v16, v47
	v_fma_f16 v0, -0.5, v17, v0
	v_add_f16_e32 v17, v1, v3
	v_sub_f16_e32 v3, v3, v14
	v_fmac_f16_e32 v1, -0.5, v18
	v_fmac_f16_e32 v22, -0.5, v16
	v_fmamk_f16 v46, v38, 0x3aee, v0
	v_fmac_f16_e32 v0, 0xbaee, v38
	v_fmamk_f16 v38, v2, 0xbaee, v21
	v_fmac_f16_e32 v21, 0x3aee, v2
	v_add_f16_e32 v2, v17, v14
	v_add_f16_e32 v14, v45, v47
	v_pack_b32_f16 v15, v13, v15
	v_fmamk_f16 v13, v44, 0x3aee, v1
	v_fmamk_f16 v16, v3, 0xbaee, v22
	v_fmac_f16_e32 v1, 0xbaee, v44
	v_pack_b32_f16 v2, v2, v14
	v_fmac_f16_e32 v22, 0x3aee, v3
	v_pack_b32_f16 v3, v46, v38
	v_pack_b32_f16 v16, v13, v16
	v_mad_co_u64_u32 v[13:14], null, v39, 20, s[4:5]
	v_pack_b32_f16 v0, v0, v21
	v_pack_b32_f16 v1, v1, v22
	ds_store_2addr_b32 v36, v15, v3 offset1:13
	ds_store_b32 v36, v0 offset:104
	ds_store_2addr_b32 v37, v2, v16 offset1:13
	ds_store_b32 v37, v1 offset:104
	global_wb scope:SCOPE_SE
	s_wait_dscnt 0x0
	s_barrier_signal -1
	s_barrier_wait -1
	global_inv scope:SCOPE_SE
	s_clause 0x1
	global_load_b128 v[0:3], v[13:14], off offset:104
	global_load_b32 v38, v[13:14], off offset:120
	ds_load_2addr_b32 v[13:14], v27 offset1:117
	ds_load_2addr_b32 v[15:16], v24 offset0:106 offset1:223
	ds_load_2addr_b32 v[17:18], v59 offset0:84 offset1:201
	v_add_lshl_u32 v39, v20, v39, 2
	v_lshlrev_b32_e32 v21, 3, v26
	global_wb scope:SCOPE_SE
	s_wait_loadcnt_dscnt 0x0
	s_barrier_signal -1
	s_barrier_wait -1
	global_inv scope:SCOPE_SE
	v_lshrrev_b32_e32 v22, 16, v14
	v_lshrrev_b32_e32 v44, 16, v15
	;; [unrolled: 1-line block ×11, first 2 shown]
	v_mul_f16_e32 v54, v14, v52
	v_mul_f16_e32 v55, v44, v51
	v_mul_f16_e32 v56, v15, v51
	v_mul_f16_e32 v57, v45, v50
	v_mul_f16_e32 v58, v16, v50
	v_mul_f16_e32 v60, v46, v49
	v_mul_f16_e32 v61, v17, v49
	v_mul_f16_e32 v62, v47, v48
	v_mul_f16_e32 v63, v18, v48
	v_mul_f16_e32 v53, v22, v52
	v_fmac_f16_e32 v54, v22, v0
	v_fma_f16 v15, v15, v1, -v55
	v_fmac_f16_e32 v56, v44, v1
	v_fma_f16 v16, v16, v2, -v57
	;; [unrolled: 2-line block ×5, first 2 shown]
	v_add_f16_e32 v44, v15, v17
	v_sub_f16_e32 v45, v56, v61
	v_add_f16_e32 v46, v20, v56
	v_add_f16_e32 v47, v56, v61
	;; [unrolled: 1-line block ×3, first 2 shown]
	v_sub_f16_e32 v56, v58, v63
	v_add_f16_e32 v57, v54, v58
	v_add_f16_e32 v58, v58, v63
	v_add_f16_e32 v22, v13, v15
	v_sub_f16_e32 v15, v15, v17
	v_add_f16_e32 v53, v14, v16
	v_sub_f16_e32 v16, v16, v18
	v_fmac_f16_e32 v13, -0.5, v44
	v_fmac_f16_e32 v20, -0.5, v47
	;; [unrolled: 1-line block ×4, first 2 shown]
	v_add_f16_e32 v17, v22, v17
	v_add_f16_e32 v22, v46, v61
	;; [unrolled: 1-line block ×3, first 2 shown]
	v_fmamk_f16 v46, v45, 0x3aee, v13
	v_fmac_f16_e32 v13, 0xbaee, v45
	v_fmamk_f16 v45, v15, 0xbaee, v20
	v_fmac_f16_e32 v20, 0x3aee, v15
	v_fmamk_f16 v15, v56, 0x3aee, v14
	v_fmamk_f16 v47, v16, 0xbaee, v54
	v_fmac_f16_e32 v14, 0xbaee, v56
	v_fmac_f16_e32 v54, 0x3aee, v16
	v_add_f16_e32 v16, v17, v18
	v_sub_f16_e32 v17, v17, v18
	v_mul_f16_e32 v18, 0x3aee, v47
	v_mul_f16_e32 v56, 0xbaee, v15
	v_add_f16_e32 v44, v57, v63
	v_mul_f16_e32 v55, -0.5, v14
	v_mul_f16_e32 v57, -0.5, v54
	v_fmac_f16_e32 v18, 0.5, v15
	v_fmac_f16_e32 v56, 0.5, v47
	v_add_f16_e32 v53, v22, v44
	v_fmac_f16_e32 v55, 0x3aee, v54
	v_fmac_f16_e32 v57, 0xbaee, v14
	v_sub_f16_e32 v22, v22, v44
	v_add_f16_e32 v15, v46, v18
	v_add_f16_e32 v44, v45, v56
	v_pack_b32_f16 v14, v16, v53
	v_add_f16_e32 v16, v13, v55
	v_add_f16_e32 v47, v20, v57
	v_sub_f16_e32 v18, v46, v18
	v_sub_f16_e32 v13, v13, v55
	;; [unrolled: 1-line block ×4, first 2 shown]
	v_pack_b32_f16 v15, v15, v44
	v_pack_b32_f16 v17, v17, v22
	v_pack_b32_f16 v16, v16, v47
	v_pack_b32_f16 v18, v18, v45
	v_pack_b32_f16 v13, v13, v20
	ds_store_2addr_b32 v39, v14, v15 offset1:39
	ds_store_2addr_b32 v39, v16, v17 offset0:78 offset1:117
	ds_store_2addr_b32 v39, v18, v13 offset0:156 offset1:195
	global_wb scope:SCOPE_SE
	s_wait_dscnt 0x0
	s_barrier_signal -1
	s_barrier_wait -1
	global_inv scope:SCOPE_SE
	s_clause 0x1
	global_load_b64 v[15:16], v21, s[4:5] offset:884
	global_load_b64 v[13:14], v19, s[4:5] offset:884
	ds_load_2addr_b32 v[19:20], v27 offset1:117
	ds_load_2addr_b32 v[17:18], v24 offset0:106 offset1:223
	ds_load_2addr_b32 v[21:22], v59 offset0:84 offset1:201
	s_wait_dscnt 0x2
	v_lshrrev_b32_e32 v54, 16, v20
	s_wait_dscnt 0x1
	v_lshrrev_b32_e32 v53, 16, v17
	;; [unrolled: 2-line block ×3, first 2 shown]
	v_lshrrev_b32_e32 v57, 16, v18
	v_lshrrev_b32_e32 v58, 16, v22
	;; [unrolled: 1-line block ×3, first 2 shown]
	s_wait_loadcnt 0x1
	v_lshrrev_b32_e32 v47, 16, v15
	v_lshrrev_b32_e32 v46, 16, v16
	s_wait_loadcnt 0x0
	v_lshrrev_b32_e32 v45, 16, v13
	v_lshrrev_b32_e32 v44, 16, v14
	v_mul_f16_e32 v60, v53, v47
	v_mul_f16_e32 v61, v17, v47
	;; [unrolled: 1-line block ×8, first 2 shown]
	v_fma_f16 v17, v17, v15, -v60
	v_fmac_f16_e32 v61, v53, v15
	v_fma_f16 v21, v21, v16, -v62
	v_fmac_f16_e32 v63, v56, v16
	;; [unrolled: 2-line block ×4, first 2 shown]
	v_add_f16_e32 v53, v19, v17
	v_add_f16_e32 v56, v17, v21
	;; [unrolled: 1-line block ×4, first 2 shown]
	v_sub_f16_e32 v66, v65, v67
	v_add_f16_e32 v68, v54, v65
	v_add_f16_e32 v65, v65, v67
	;; [unrolled: 1-line block ×4, first 2 shown]
	v_sub_f16_e32 v57, v61, v63
	v_sub_f16_e32 v61, v17, v21
	v_sub_f16_e32 v69, v18, v22
	v_add_f16_e32 v17, v53, v21
	v_fma_f16 v21, -0.5, v56, v19
	v_fmac_f16_e32 v55, -0.5, v60
	v_fmac_f16_e32 v20, -0.5, v64
	v_fmac_f16_e32 v54, -0.5, v65
	v_add_f16_e32 v53, v58, v63
	v_add_f16_e32 v22, v62, v22
	;; [unrolled: 1-line block ×3, first 2 shown]
	v_fmamk_f16 v18, v57, 0x3aee, v21
	v_fmac_f16_e32 v21, 0xbaee, v57
	v_fmamk_f16 v58, v61, 0xbaee, v55
	v_fmamk_f16 v19, v66, 0x3aee, v20
	;; [unrolled: 1-line block ×3, first 2 shown]
	v_fmac_f16_e32 v55, 0x3aee, v61
	v_fmac_f16_e32 v20, 0xbaee, v66
	;; [unrolled: 1-line block ×3, first 2 shown]
	v_pack_b32_f16 v60, v17, v53
	v_pack_b32_f16 v61, v22, v56
	;; [unrolled: 1-line block ×6, first 2 shown]
	ds_store_2addr_b32 v27, v60, v61 offset1:117
	ds_store_2addr_b32 v24, v62, v64 offset0:106 offset1:223
	ds_store_2addr_b32 v59, v63, v65 offset0:84 offset1:201
	global_wb scope:SCOPE_SE
	s_wait_dscnt 0x0
	s_barrier_signal -1
	s_barrier_wait -1
	global_inv scope:SCOPE_SE
	s_and_saveexec_b32 s6, vcc_lo
	s_cbranch_execz .LBB0_9
; %bb.8:
	global_load_b32 v24, v25, s[20:21] offset:2808
	s_add_nc_u64 s[4:5], s[20:21], 0xaf8
	s_clause 0xb
	global_load_b32 v71, v25, s[4:5] offset:216
	global_load_b32 v72, v25, s[4:5] offset:432
	;; [unrolled: 1-line block ×12, first 2 shown]
	ds_load_b32 v59, v27
	v_add_nc_u32_e32 v83, 0x400, v25
	v_add_nc_u32_e32 v84, 0x800, v25
	s_wait_dscnt 0x0
	v_lshrrev_b32_e32 v60, 16, v59
	s_wait_loadcnt 0xb
	v_lshrrev_b32_e32 v85, 16, v71
	s_wait_loadcnt 0xa
	;; [unrolled: 2-line block ×8, first 2 shown]
	v_lshrrev_b32_e32 v92, 16, v78
	v_lshrrev_b32_e32 v61, 16, v24
	s_wait_loadcnt 0x3
	v_lshrrev_b32_e32 v93, 16, v79
	s_wait_loadcnt 0x2
	;; [unrolled: 2-line block ×4, first 2 shown]
	v_lshrrev_b32_e32 v96, 16, v82
	v_mul_f16_e32 v62, v60, v61
	v_mul_f16_e32 v61, v59, v61
	s_delay_alu instid0(VALU_DEP_2) | instskip(NEXT) | instid1(VALU_DEP_2)
	v_fma_f16 v59, v59, v24, -v62
	v_fmac_f16_e32 v61, v60, v24
	s_delay_alu instid0(VALU_DEP_1)
	v_pack_b32_f16 v24, v59, v61
	ds_store_b32 v27, v24
	v_add_nc_u32_e32 v24, 0x600, v25
	ds_load_2addr_b32 v[59:60], v25 offset0:54 offset1:108
	ds_load_2addr_b32 v[61:62], v25 offset0:162 offset1:216
	ds_load_2addr_b32 v[63:64], v83 offset0:14 offset1:68
	ds_load_2addr_b32 v[65:66], v83 offset0:122 offset1:176
	ds_load_2addr_b32 v[67:68], v24 offset0:102 offset1:156
	ds_load_2addr_b32 v[69:70], v84 offset0:82 offset1:136
	s_wait_dscnt 0x5
	v_lshrrev_b32_e32 v97, 16, v59
	v_lshrrev_b32_e32 v99, 16, v60
	s_wait_dscnt 0x4
	v_lshrrev_b32_e32 v101, 16, v61
	v_lshrrev_b32_e32 v103, 16, v62
	;; [unrolled: 3-line block ×5, first 2 shown]
	v_mul_f16_e32 v98, v59, v85
	v_mul_f16_e32 v100, v60, v86
	s_wait_dscnt 0x0
	v_lshrrev_b32_e32 v117, 16, v69
	v_lshrrev_b32_e32 v119, 16, v70
	v_mul_f16_e32 v85, v97, v85
	v_mul_f16_e32 v86, v99, v86
	;; [unrolled: 1-line block ×20, first 2 shown]
	v_fmac_f16_e32 v98, v97, v71
	v_fmac_f16_e32 v100, v99, v72
	v_mul_f16_e32 v95, v117, v95
	v_mul_f16_e32 v96, v119, v96
	v_fma_f16 v59, v59, v71, -v85
	v_fma_f16 v60, v60, v72, -v86
	v_fmac_f16_e32 v102, v101, v73
	v_fmac_f16_e32 v104, v103, v74
	v_fma_f16 v61, v61, v73, -v87
	v_fma_f16 v62, v62, v74, -v88
	v_fmac_f16_e32 v106, v105, v75
	v_fmac_f16_e32 v108, v107, v76
	;; [unrolled: 4-line block ×5, first 2 shown]
	v_fma_f16 v69, v69, v81, -v95
	v_fma_f16 v70, v70, v82, -v96
	v_pack_b32_f16 v59, v59, v98
	v_pack_b32_f16 v60, v60, v100
	;; [unrolled: 1-line block ×12, first 2 shown]
	ds_store_2addr_b32 v25, v59, v60 offset0:54 offset1:108
	ds_store_2addr_b32 v25, v61, v62 offset0:162 offset1:216
	;; [unrolled: 1-line block ×6, first 2 shown]
.LBB0_9:
	s_wait_alu 0xfffe
	s_or_b32 exec_lo, exec_lo, s6
	v_lshrrev_b32_e32 v24, 16, v35
	global_wb scope:SCOPE_SE
	s_wait_dscnt 0x0
	s_barrier_signal -1
	s_barrier_wait -1
	global_inv scope:SCOPE_SE
	s_and_saveexec_b32 s4, vcc_lo
	s_cbranch_execz .LBB0_11
; %bb.10:
	v_add_nc_u32_e32 v5, 0x200, v27
	v_add_nc_u32_e32 v6, 0x400, v27
	ds_load_2addr_b32 v[17:18], v27 offset1:54
	ds_load_2addr_b32 v[21:22], v27 offset0:108 offset1:162
	ds_load_2addr_b32 v[19:20], v5 offset0:88 offset1:142
	v_add_nc_u32_e32 v5, 0x800, v27
	ds_load_2addr_b32 v[23:24], v6 offset0:68 offset1:122
	ds_load_2addr_b32 v[7:8], v6 offset0:176 offset1:230
	;; [unrolled: 1-line block ×3, first 2 shown]
	ds_load_b32 v29, v27 offset:2592
	s_wait_dscnt 0x6
	v_lshrrev_b32_e32 v53, 16, v17
	v_lshrrev_b32_e32 v58, 16, v18
	s_wait_dscnt 0x5
	v_lshrrev_b32_e32 v55, 16, v21
	v_lshrrev_b32_e32 v56, 16, v22
	;; [unrolled: 3-line block ×6, first 2 shown]
	s_wait_dscnt 0x0
	v_bfi_b32 v23, 0xffff, v23, v29
.LBB0_11:
	s_wait_alu 0xfffe
	s_or_b32 exec_lo, exec_lo, s4
	global_wb scope:SCOPE_SE
	s_barrier_signal -1
	s_barrier_wait -1
	global_inv scope:SCOPE_SE
	s_and_saveexec_b32 s4, vcc_lo
	s_cbranch_execz .LBB0_13
; %bb.12:
	v_lshrrev_b32_e32 v75, 16, v23
	v_sub_f16_e32 v63, v18, v29
	v_add_f16_e32 v76, v30, v55
	v_sub_f16_e32 v61, v21, v6
	v_add_f16_e32 v77, v31, v56
	v_add_f16_e32 v78, v75, v58
	v_sub_f16_e32 v85, v58, v75
	v_mul_f16_e32 v82, 0x3b15, v76
	v_sub_f16_e32 v62, v22, v5
	v_add_f16_e32 v65, v29, v18
	v_mul_f16_e32 v81, 0xbbc4, v78
	v_sub_f16_e32 v83, v55, v30
	v_mul_f16_e32 v84, 0xb9fd, v77
	v_fmamk_f16 v67, v61, 0xb770, v82
	v_mul_f16_e32 v87, 0xb3a8, v85
	v_fmamk_f16 v66, v63, 0x33a8, v81
	v_add_f16_e32 v64, v6, v21
	v_fmamk_f16 v69, v62, 0x394e, v84
	v_sub_f16_e32 v88, v56, v31
	v_mul_f16_e32 v89, 0x3770, v83
	v_add_f16_e32 v68, v53, v66
	v_fmamk_f16 v70, v65, 0xbbc4, v87
	v_add_f16_e32 v66, v5, v22
	v_mul_f16_e32 v91, 0xb94e, v88
	v_sub_f16_e32 v92, v57, v32
	v_add_f16_e32 v67, v67, v68
	v_add_f16_e32 v70, v17, v70
	v_sub_f16_e32 v96, v54, v33
	v_fmamk_f16 v72, v66, 0xb9fd, v91
	v_mul_f16_e32 v94, 0x3a95, v92
	v_add_f16_e32 v67, v69, v67
	v_fmamk_f16 v69, v64, 0x3b15, v89
	v_mul_f16_e32 v97, 0xbb7b, v96
	v_mul_f16_e32 v98, 0xb9fd, v78
	;; [unrolled: 1-line block ×3, first 2 shown]
	v_add_f16_e32 v79, v32, v57
	v_add_f16_e32 v70, v69, v70
	;; [unrolled: 1-line block ×3, first 2 shown]
	v_fmamk_f16 v74, v63, 0x394e, v98
	v_mul_f16_e32 v101, 0x388b, v77
	v_sub_f16_e32 v59, v19, v8
	v_add_f16_e32 v72, v72, v70
	v_fmamk_f16 v73, v69, 0x388b, v94
	v_add_f16_e32 v70, v7, v20
	v_add_f16_e32 v80, v33, v54
	v_mul_f16_e32 v86, 0x388b, v79
	v_mul_f16_e32 v104, 0xbbc4, v79
	v_add_f16_e32 v72, v73, v72
	v_fmamk_f16 v73, v70, 0xb5ac, v97
	v_sub_f16_e32 v60, v20, v7
	v_fmamk_f16 v68, v59, 0xba95, v86
	v_add_f16_e32 v93, v34, v35
	v_mul_f16_e32 v108, 0x3b15, v80
	v_add_f16_e32 v72, v73, v72
	v_add_f16_e32 v73, v53, v74
	v_fmamk_f16 v74, v61, 0xbbf1, v99
	v_add_f16_e32 v68, v68, v67
	v_sub_f16_e32 v67, v23, v24
	v_mul_f16_e32 v111, 0xb5ac, v93
	v_mul_f16_e32 v112, 0xb5ac, v78
	v_add_f16_e32 v73, v74, v73
	v_fmamk_f16 v74, v62, 0x3a95, v101
	v_mul_f16_e32 v115, 0xb9fd, v76
	v_fmamk_f16 v113, v67, 0x3b7b, v111
	v_fmamk_f16 v114, v63, 0x3b7b, v112
	v_mul_f16_e32 v116, 0x3b15, v77
	v_add_f16_e32 v73, v74, v73
	v_fmamk_f16 v74, v59, 0xb3a8, v104
	v_mul_f16_e32 v118, 0x2fb7, v79
	v_mul_f16_e32 v122, 0xbbc4, v80
	;; [unrolled: 1-line block ×3, first 2 shown]
	v_mul_f16_e64 v129, 0xbbc4, v76
	v_add_f16_e32 v73, v74, v73
	v_fmamk_f16 v74, v60, 0xb770, v108
	v_mul_f16_e64 v130, 0xb5ac, v77
	v_fma_f16 v128, 0x3bf1, v63, v125
	v_mul_f16_e64 v132, 0x3b15, v79
	v_mul_f16_e64 v136, 0x388b, v80
	v_add_f16_e32 v73, v74, v73
	v_mul_f16_e64 v139, 0x388b, v78
	v_mul_f16_e64 v143, 0xb5ac, v76
	;; [unrolled: 1-line block ×4, first 2 shown]
	v_add_f16_e32 v73, v113, v73
	v_add_f16_e32 v113, v53, v114
	v_fmamk_f16 v114, v61, 0xb94e, v115
	v_fma_f16 v142, 0x3a95, v63, v139
	v_mul_f16_e64 v150, 0x2fb7, v80
	v_mul_f16_e32 v78, 0x3b15, v78
	v_mul_f16_e32 v76, 0x388b, v76
	v_add_f16_e32 v113, v114, v113
	v_fmamk_f16 v114, v62, 0xb770, v116
	v_add_f16_e32 v18, v18, v17
	v_fma_f16 v155, 0x3770, v63, v78
	v_mul_f16_e32 v77, 0x2fb7, v77
	v_mul_f16_e32 v79, 0xb5ac, v79
	v_add_f16_e32 v113, v114, v113
	v_fmamk_f16 v114, v59, 0x3bf1, v118
	v_add_f16_e32 v18, v21, v18
	v_add_f16_e32 v21, v58, v53
	v_mul_f16_e32 v90, 0xb5ac, v80
	v_mul_f16_e32 v103, 0xb94e, v85
	v_add_f16_e32 v113, v114, v113
	v_fmamk_f16 v114, v60, 0xb3a8, v122
	v_add_f16_e32 v18, v22, v18
	v_add_f16_e32 v21, v55, v21
	v_mul_f16_e32 v117, 0xbb7b, v85
	v_mul_f16_e64 v131, 0xbbf1, v85
	v_add_f16_e32 v113, v114, v113
	v_mul_f16_e32 v114, 0x388b, v93
	v_mul_f16_e64 v145, 0xba95, v85
	v_mul_f16_e32 v85, 0xb770, v85
	v_add_f16_e32 v18, v19, v18
	v_add_f16_e32 v19, v56, v21
	v_fmamk_f16 v127, v67, 0xba95, v114
	v_fmamk_f16 v71, v60, 0x3b7b, v90
	v_mul_f16_e32 v95, 0x2fb7, v93
	v_mul_f16_e32 v21, 0xba95, v83
	v_add_f16_e32 v18, v20, v18
	v_add_f16_e32 v113, v127, v113
	v_add_f16_e64 v127, v53, v128
	v_fma_f16 v128, 0x33a8, v61, v129
	v_add_f16_e32 v19, v57, v19
	v_add_f16_e32 v68, v71, v68
	v_fmamk_f16 v71, v67, 0xbbf1, v95
	v_fmamk_f16 v20, v64, 0x388b, v21
	v_add_f16_e64 v127, v128, v127
	v_fma_f16 v128, 0xbb7b, v62, v130
	v_mul_f16_e32 v57, 0xbbf1, v88
	v_add_f16_e32 v18, v23, v18
	v_add_f16_e32 v19, v54, v19
	;; [unrolled: 1-line block ×3, first 2 shown]
	v_add_f16_e64 v127, v128, v127
	v_fma_f16 v128, 0xb770, v59, v132
	v_add_f16_e32 v71, v24, v23
	v_fmamk_f16 v23, v66, 0x2fb7, v57
	v_mul_f16_e32 v54, 0xbb7b, v92
	v_add_f16_e32 v18, v24, v18
	v_add_f16_e64 v127, v128, v127
	v_fma_f16 v128, 0x3a95, v60, v136
	v_add_f16_e32 v19, v35, v19
	v_sub_f16_e32 v100, v35, v34
	v_add_f16_e32 v7, v7, v18
	v_mul_f16_e32 v56, 0xb9fd, v80
	v_add_f16_e64 v127, v128, v127
	v_mul_f16_e64 v128, 0xb9fd, v93
	v_add_f16_e32 v18, v34, v19
	v_mul_f16_e32 v19, 0xb94e, v96
	v_add_f16_e32 v7, v8, v7
	v_fmamk_f16 v80, v60, 0x394e, v56
	v_fma_f16 v141, 0x394e, v67, v128
	v_add_f16_e32 v8, v33, v18
	v_fmamk_f16 v18, v70, 0xb9fd, v19
	v_mul_f16_e32 v34, 0xbbc4, v93
	v_add_f16_e32 v5, v5, v7
	v_add_f16_e64 v127, v141, v127
	v_add_f16_e64 v141, v53, v142
	v_fma_f16 v142, 0x3b7b, v61, v143
	v_add_f16_e32 v7, v32, v8
	v_mul_f16_e32 v102, 0x3bf1, v100
	v_fmamk_f16 v106, v65, 0xb9fd, v103
	v_mul_f16_e32 v107, 0x3bf1, v83
	v_add_f16_e64 v141, v142, v141
	v_fma_f16 v142, 0x33a8, v62, v144
	v_fmamk_f16 v33, v67, 0x33a8, v34
	v_add_f16_e32 v5, v6, v5
	v_add_f16_e32 v6, v31, v7
	v_fmamk_f16 v105, v71, 0x2fb7, v102
	v_add_f16_e64 v141, v142, v141
	v_fma_f16 v142, 0xb94e, v59, v146
	v_add_f16_e32 v106, v17, v106
	v_fmamk_f16 v109, v64, 0x2fb7, v107
	v_mul_f16_e32 v110, 0xba95, v88
	v_fmac_f16_e32 v98, 0xb94e, v63
	v_add_f16_e64 v141, v142, v141
	v_fma_f16 v142, 0xbbf1, v60, v150
	v_add_f16_e32 v72, v105, v72
	v_add_f16_e32 v105, v109, v106
	v_fmamk_f16 v106, v66, 0x388b, v110
	v_mul_f16_e32 v109, 0x33a8, v92
	v_add_f16_e64 v141, v142, v141
	v_mul_f16_e64 v142, 0x3b15, v93
	v_add_f16_e32 v5, v29, v5
	v_add_f16_e32 v29, v53, v98
	v_fmac_f16_e32 v99, 0x3bf1, v61
	v_add_f16_e32 v74, v106, v105
	v_fma_f16 v154, 0xb770, v67, v142
	v_fmamk_f16 v105, v69, 0xbbc4, v109
	v_mul_f16_e32 v106, 0x3770, v96
	v_add_f16_e32 v29, v99, v29
	v_fmac_f16_e32 v101, 0xba95, v62
	v_add_f16_e64 v141, v154, v141
	v_add_f16_e64 v154, v53, v155
	v_fma_f16 v155, 0x3a95, v61, v76
	v_add_f16_e32 v74, v105, v74
	v_fmamk_f16 v105, v70, 0x3b15, v106
	v_add_f16_e32 v29, v101, v29
	v_fmac_f16_e32 v104, 0x33a8, v59
	v_add_f16_e64 v154, v155, v154
	v_fma_f16 v155, 0x3bf1, v62, v77
	v_add_f16_e32 v74, v105, v74
	v_mul_f16_e32 v105, 0xbb7b, v100
	v_fmamk_f16 v120, v65, 0xb5ac, v117
	v_mul_f16_e32 v121, 0x394e, v83
	v_add_f16_e64 v58, v155, v154
	v_fma_f16 v154, 0x3b7b, v59, v79
	v_add_f16_e32 v6, v30, v6
	v_add_f16_e32 v29, v104, v29
	v_fmac_f16_e32 v108, 0x3770, v60
	v_fma_f16 v30, v65, 0xb9fd, -v103
	v_add_f16_e64 v55, v154, v58
	v_fmamk_f16 v58, v65, 0x3b15, v85
	v_fmamk_f16 v119, v71, 0xb5ac, v105
	v_add_f16_e32 v120, v17, v120
	v_fmamk_f16 v123, v64, 0xb9fd, v121
	v_add_f16_e32 v24, v80, v55
	v_add_f16_e32 v58, v17, v58
	v_mul_f16_e32 v124, 0x3770, v88
	v_add_f16_e32 v74, v119, v74
	v_add_f16_e32 v119, v123, v120
	v_mul_f16_e32 v123, 0xbbf1, v92
	v_add_f16_e32 v20, v20, v58
	v_fmamk_f16 v120, v66, 0x3b15, v124
	v_mul_f16_e32 v126, 0x33a8, v96
	v_fma_f16 v134, 0x2fb7, v65, v131
	v_mul_f16_e64 v135, 0xb3a8, v83
	v_add_f16_e32 v20, v23, v20
	v_fmamk_f16 v23, v69, 0xb5ac, v54
	v_add_f16_e32 v119, v120, v119
	v_fmamk_f16 v120, v69, 0x2fb7, v123
	v_add_f16_e64 v134, v17, v134
	v_fma_f16 v137, 0xbbc4, v64, v135
	v_add_f16_e32 v20, v23, v20
	v_mul_f16_e32 v23, 0xb3a8, v100
	v_add_f16_e32 v119, v120, v119
	v_fmamk_f16 v120, v70, 0xbbc4, v126
	v_mul_f16_e64 v138, 0x3b7b, v88
	v_add_f16_e32 v8, v18, v20
	v_fmamk_f16 v18, v71, 0xbbc4, v23
	v_add_f16_e32 v20, v33, v24
	v_fma_f16 v24, v64, 0x3b15, -v89
	v_add_f16_e32 v119, v120, v119
	v_mul_f16_e32 v120, 0x3a95, v100
	v_add_f16_e32 v7, v18, v8
	v_fma_f16 v8, v65, 0xbbc4, -v87
	v_fma_f16 v32, v65, 0xb5ac, -v117
	;; [unrolled: 1-line block ×3, first 2 shown]
	v_fma_f16 v133, 0x388b, v71, v120
	v_fma_f16 v35, v64, 0xbbc4, -v135
	v_add_f16_e32 v8, v17, v8
	v_add_f16_e32 v32, v17, v32
	v_fmac_f16_e64 v139, 0xba95, v63
	v_add_f16_e64 v119, v133, v119
	v_add_f16_e64 v133, v137, v134
	v_add_f16_e32 v8, v24, v8
	v_fma_f16 v24, v66, 0xb9fd, -v91
	v_fma_f16 v134, 0xb5ac, v66, v138
	v_mul_f16_e64 v137, 0x3770, v92
	v_mul_f16_e64 v140, 0xba95, v96
	v_add_f16_e32 v32, v33, v32
	v_add_f16_e32 v8, v24, v8
	v_fma_f16 v24, v69, 0x388b, -v94
	v_add_f16_e64 v133, v134, v133
	v_fma_f16 v134, 0x3b15, v69, v137
	v_fma_f16 v33, v66, 0x3b15, -v124
	v_add_f16_e64 v58, v53, v139
	v_add_f16_e32 v8, v24, v8
	v_fma_f16 v24, v70, 0xb5ac, -v97
	v_fmac_f16_e64 v143, 0xbb7b, v61
	v_add_f16_e64 v133, v134, v133
	v_fma_f16 v134, 0x388b, v70, v140
	v_add_f16_e32 v32, v33, v32
	v_add_f16_e32 v8, v24, v8
	v_fma_f16 v24, v71, 0x2fb7, -v102
	v_fma_f16 v33, v69, 0x2fb7, -v123
	v_add_f16_e64 v58, v143, v58
	v_fmac_f16_e64 v144, 0xb3a8, v62
	v_add_f16_e64 v133, v134, v133
	v_add_f16_e32 v8, v24, v8
	v_add_f16_e32 v24, v108, v29
	;; [unrolled: 1-line block ×3, first 2 shown]
	v_fma_f16 v30, v64, 0x2fb7, -v107
	v_mul_f16_e64 v134, 0xb94e, v100
	v_add_f16_e32 v32, v33, v32
	v_fma_f16 v33, v70, 0xbbc4, -v126
	v_add_f16_e64 v58, v144, v58
	v_add_f16_e32 v29, v30, v29
	v_fma_f16 v30, v66, 0x388b, -v110
	v_fmac_f16_e64 v146, 0x394e, v59
	v_fma_f16 v148, 0x388b, v65, v145
	v_mul_f16_e64 v149, 0xbb7b, v83
	v_add_f16_e32 v32, v33, v32
	v_add_f16_e32 v29, v30, v29
	v_fma_f16 v30, v69, 0xbbc4, -v109
	v_fma_f16 v55, v71, 0x388b, -v120
	v_add_f16_e64 v58, v146, v58
	v_fmac_f16_e64 v150, 0x3bf1, v60
	v_fma_f16 v147, 0xb9fd, v71, v134
	v_add_f16_e32 v29, v30, v29
	v_fma_f16 v30, v70, 0x3b15, -v106
	v_add_f16_e64 v148, v17, v148
	v_fma_f16 v151, 0xb5ac, v64, v149
	v_mul_f16_e64 v152, 0xb3a8, v88
	v_fmac_f16_e32 v81, 0xb3a8, v63
	v_add_f16_e32 v29, v30, v29
	v_fma_f16 v30, v71, 0xb5ac, -v105
	v_fmac_f16_e32 v112, 0xbb7b, v63
	v_fmac_f16_e32 v125, 0xbbf1, v63
	v_add_f16_e32 v32, v55, v32
	v_add_f16_e64 v55, v150, v58
	v_add_f16_e32 v29, v30, v29
	v_fma_f16 v30, v65, 0x2fb7, -v131
	v_fmac_f16_e32 v78, 0xb770, v63
	v_fma_f16 v58, v65, 0x3b15, -v85
	v_add_f16_e64 v133, v147, v133
	v_add_f16_e64 v147, v151, v148
	v_add_f16_e32 v30, v17, v30
	v_fma_f16 v148, 0xbbc4, v66, v152
	v_mul_f16_e64 v151, 0x394e, v92
	v_add_f16_e32 v18, v53, v81
	v_fmac_f16_e32 v82, 0x3770, v61
	v_add_f16_e32 v30, v35, v30
	v_fma_f16 v35, v66, 0xb5ac, -v138
	v_add_f16_e32 v31, v53, v112
	v_fmac_f16_e32 v115, 0x394e, v61
	v_add_f16_e32 v33, v53, v125
	v_fmac_f16_e64 v129, 0xb3a8, v61
	v_add_f16_e32 v30, v35, v30
	v_fma_f16 v35, v69, 0x3b15, -v137
	v_fma_f16 v63, v64, 0xb5ac, -v149
	v_add_f16_e32 v53, v53, v78
	v_fmac_f16_e32 v76, 0xba95, v61
	v_fma_f16 v21, v64, 0x388b, -v21
	v_add_f16_e32 v30, v35, v30
	v_fma_f16 v35, v70, 0x388b, -v140
	v_add_f16_e64 v147, v148, v147
	v_fma_f16 v148, 0xb9fd, v69, v151
	v_mul_f16_e64 v153, 0x3bf1, v96
	v_add_f16_e32 v18, v82, v18
	v_add_f16_e32 v30, v35, v30
	v_fma_f16 v35, v71, 0xb9fd, -v134
	v_fmac_f16_e32 v84, 0xb94e, v62
	v_add_f16_e32 v31, v115, v31
	v_fmac_f16_e32 v116, 0x3770, v62
	v_add_f16_e64 v33, v129, v33
	v_add_f16_e32 v30, v35, v30
	v_fma_f16 v35, v65, 0x388b, -v145
	v_fmac_f16_e64 v130, 0x3b7b, v62
	v_add_f16_e32 v53, v76, v53
	v_fmac_f16_e32 v77, 0xbbf1, v62
	v_add_f16_e64 v147, v148, v147
	v_add_f16_e32 v35, v17, v35
	v_add_f16_e32 v17, v17, v58
	v_fma_f16 v58, v66, 0xbbc4, -v152
	v_fma_f16 v148, 0x2fb7, v70, v153
	v_add_f16_e32 v18, v84, v18
	v_add_f16_e32 v35, v63, v35
	;; [unrolled: 1-line block ×3, first 2 shown]
	v_fma_f16 v21, v66, 0x2fb7, -v57
	v_fmac_f16_e32 v86, 0x3a95, v59
	v_add_f16_e32 v31, v116, v31
	v_fmac_f16_e32 v118, 0xbbf1, v59
	v_add_f16_e64 v33, v130, v33
	v_fmac_f16_e64 v132, 0x3770, v59
	v_add_f16_e32 v35, v58, v35
	v_fma_f16 v57, v69, 0xb9fd, -v151
	v_add_f16_e32 v53, v77, v53
	v_fmac_f16_e32 v79, 0xbb7b, v59
	v_add_f16_e32 v17, v21, v17
	v_fma_f16 v21, v69, 0xb5ac, -v54
	v_add_f16_e64 v147, v148, v147
	v_mul_f16_e64 v148, 0x3770, v100
	v_add_f16_e32 v18, v86, v18
	v_fmac_f16_e32 v90, 0xbb7b, v60
	v_add_f16_e32 v31, v118, v31
	v_fmac_f16_e32 v122, 0x33a8, v60
	v_add_f16_e64 v33, v132, v33
	v_fmac_f16_e64 v136, 0xba95, v60
	v_add_f16_e32 v35, v57, v35
	v_fma_f16 v54, v70, 0x2fb7, -v153
	v_add_f16_e32 v53, v79, v53
	v_fmac_f16_e32 v56, 0xb94e, v60
	v_add_f16_e32 v17, v21, v17
	v_fma_f16 v19, v70, 0xb9fd, -v19
	v_fma_f16 v156, 0x3b15, v71, v148
	v_add_f16_e32 v18, v90, v18
	v_fmac_f16_e32 v95, 0x3bf1, v67
	v_fmac_f16_e32 v111, 0xbb7b, v67
	v_add_f16_e32 v31, v122, v31
	v_fmac_f16_e32 v114, 0x3a95, v67
	v_add_f16_e32 v6, v75, v6
	v_add_f16_e64 v33, v136, v33
	v_fmac_f16_e64 v128, 0xb94e, v67
	v_fmac_f16_e64 v142, 0x3770, v67
	v_add_f16_e32 v21, v54, v35
	v_fma_f16 v35, v71, 0x3b15, -v148
	v_add_f16_e32 v53, v56, v53
	v_fmac_f16_e32 v34, 0xb3a8, v67
	v_add_f16_e32 v17, v19, v17
	v_fma_f16 v19, v71, 0xbbc4, -v23
	v_and_b32_e32 v23, 0xffff, v28
	v_add_f16_e64 v22, v156, v147
	v_add_f16_e32 v18, v95, v18
	v_add_f16_e32 v24, v111, v24
	;; [unrolled: 1-line block ×3, first 2 shown]
	v_add_f16_e64 v33, v128, v33
	v_add_f16_e64 v28, v142, v55
	v_add_f16_e32 v21, v35, v21
	v_add_f16_e32 v34, v34, v53
	;; [unrolled: 1-line block ×3, first 2 shown]
	v_lshlrev_b32_e32 v19, 2, v23
	v_pack_b32_f16 v7, v7, v20
	v_pack_b32_f16 v5, v5, v6
	;; [unrolled: 1-line block ×13, first 2 shown]
	ds_store_2addr_b32 v19, v5, v7 offset1:1
	ds_store_2addr_b32 v19, v20, v6 offset0:2 offset1:3
	ds_store_2addr_b32 v19, v23, v22 offset0:4 offset1:5
	ds_store_2addr_b32 v19, v18, v8 offset0:6 offset1:7
	ds_store_2addr_b32 v19, v24, v31 offset0:8 offset1:9
	ds_store_2addr_b32 v19, v28, v21 offset0:10 offset1:11
	ds_store_b32 v19, v17 offset:48
.LBB0_13:
	s_wait_alu 0xfffe
	s_or_b32 exec_lo, exec_lo, s4
	v_add_nc_u32_e32 v19, 0x200, v27
	v_add_nc_u32_e32 v20, 0x600, v27
	global_wb scope:SCOPE_SE
	s_wait_dscnt 0x0
	s_barrier_signal -1
	s_barrier_wait -1
	global_inv scope:SCOPE_SE
	ds_load_2addr_b32 v[5:6], v27 offset1:117
	ds_load_2addr_b32 v[7:8], v19 offset0:106 offset1:223
	ds_load_2addr_b32 v[17:18], v20 offset0:84 offset1:201
	global_wb scope:SCOPE_SE
	s_wait_dscnt 0x0
	s_barrier_signal -1
	s_barrier_wait -1
	global_inv scope:SCOPE_SE
	v_lshrrev_b32_e32 v21, 16, v5
	v_lshrrev_b32_e32 v23, 16, v7
	;; [unrolled: 1-line block ×3, first 2 shown]
	v_mul_f16_e32 v30, v40, v7
	v_lshrrev_b32_e32 v28, 16, v8
	v_lshrrev_b32_e32 v29, 16, v18
	v_mul_f16_e32 v31, v41, v17
	v_mul_f16_e32 v32, v43, v8
	;; [unrolled: 1-line block ×3, first 2 shown]
	v_fma_f16 v23, v9, v23, -v30
	v_mul_f16_e32 v30, v41, v24
	v_mul_f16_e32 v33, v42, v18
	v_fma_f16 v24, v10, v24, -v31
	v_mul_f16_e32 v31, v43, v28
	v_fma_f16 v28, v11, v28, -v32
	v_mul_f16_e32 v32, v42, v29
	v_fmac_f16_e32 v34, v9, v7
	v_fmac_f16_e32 v30, v10, v17
	v_fma_f16 v29, v12, v29, -v33
	v_fmac_f16_e32 v31, v11, v8
	v_fmac_f16_e32 v32, v12, v18
	v_add_f16_e32 v8, v21, v23
	v_add_f16_e32 v9, v23, v24
	;; [unrolled: 1-line block ×3, first 2 shown]
	v_lshrrev_b32_e32 v22, 16, v6
	v_sub_f16_e32 v7, v23, v24
	v_add_f16_e32 v12, v28, v29
	v_add_f16_e32 v17, v5, v34
	;; [unrolled: 1-line block ×3, first 2 shown]
	v_fmac_f16_e32 v21, -0.5, v9
	v_sub_f16_e32 v9, v34, v30
	v_add_f16_e32 v24, v31, v32
	v_fma_f16 v5, -0.5, v18, v5
	v_sub_f16_e32 v10, v28, v29
	v_add_f16_e32 v11, v22, v28
	v_add_f16_e32 v23, v6, v31
	v_fmamk_f16 v18, v9, 0x3aee, v21
	v_fmac_f16_e32 v21, 0xbaee, v9
	v_fmac_f16_e32 v6, -0.5, v24
	v_fmamk_f16 v9, v7, 0xbaee, v5
	v_fmac_f16_e32 v5, 0x3aee, v7
	v_fmac_f16_e32 v22, -0.5, v12
	v_sub_f16_e32 v7, v31, v32
	v_add_f16_e32 v17, v17, v30
	v_add_f16_e32 v12, v23, v32
	v_fmamk_f16 v23, v10, 0xbaee, v6
	v_fmac_f16_e32 v6, 0x3aee, v10
	v_add_f16_e32 v10, v11, v29
	v_fmamk_f16 v11, v7, 0x3aee, v22
	v_fmac_f16_e32 v22, 0xbaee, v7
	v_pack_b32_f16 v7, v17, v8
	v_pack_b32_f16 v8, v9, v18
	;; [unrolled: 1-line block ×6, first 2 shown]
	ds_store_2addr_b32 v36, v7, v8 offset1:13
	ds_store_b32 v36, v5 offset:104
	ds_store_2addr_b32 v37, v9, v10 offset1:13
	ds_store_b32 v37, v6 offset:104
	global_wb scope:SCOPE_SE
	s_wait_dscnt 0x0
	s_barrier_signal -1
	s_barrier_wait -1
	global_inv scope:SCOPE_SE
	ds_load_2addr_b32 v[5:6], v27 offset1:117
	ds_load_2addr_b32 v[7:8], v19 offset0:106 offset1:223
	ds_load_2addr_b32 v[9:10], v20 offset0:84 offset1:201
	global_wb scope:SCOPE_SE
	s_wait_dscnt 0x0
	s_barrier_signal -1
	s_barrier_wait -1
	global_inv scope:SCOPE_SE
	v_lshrrev_b32_e32 v11, 16, v6
	v_lshrrev_b32_e32 v17, 16, v7
	;; [unrolled: 1-line block ×4, first 2 shown]
	v_mul_f16_e32 v23, v52, v6
	v_mul_f16_e32 v22, v52, v11
	;; [unrolled: 1-line block ×4, first 2 shown]
	v_lshrrev_b32_e32 v24, 16, v10
	v_lshrrev_b32_e32 v12, 16, v5
	v_fmac_f16_e32 v22, v0, v6
	v_mul_f16_e32 v6, v50, v18
	v_fmac_f16_e32 v28, v1, v7
	v_mul_f16_e32 v7, v49, v21
	v_fma_f16 v0, v0, v11, -v23
	v_mul_f16_e32 v11, v50, v8
	v_fmac_f16_e32 v6, v2, v8
	v_mul_f16_e32 v8, v49, v9
	v_fmac_f16_e32 v7, v3, v9
	v_fma_f16 v1, v1, v17, -v29
	v_mul_f16_e32 v9, v48, v24
	v_fma_f16 v2, v2, v18, -v11
	v_mul_f16_e32 v11, v48, v10
	v_fma_f16 v3, v3, v21, -v8
	v_add_f16_e32 v8, v28, v7
	v_fmac_f16_e32 v9, v38, v10
	v_add_f16_e32 v10, v5, v28
	v_fma_f16 v11, v38, v24, -v11
	v_add_f16_e32 v17, v1, v3
	v_fmac_f16_e32 v5, -0.5, v8
	v_sub_f16_e32 v8, v1, v3
	v_add_f16_e32 v1, v12, v1
	v_add_f16_e32 v10, v10, v7
	v_fmac_f16_e32 v12, -0.5, v17
	v_sub_f16_e32 v7, v28, v7
	v_fmamk_f16 v17, v8, 0xbaee, v5
	v_fmac_f16_e32 v5, 0x3aee, v8
	v_add_f16_e32 v8, v2, v11
	v_add_f16_e32 v18, v6, v9
	v_add_f16_e32 v21, v0, v2
	v_add_f16_e32 v1, v1, v3
	v_fmamk_f16 v3, v7, 0x3aee, v12
	v_fmac_f16_e32 v0, -0.5, v8
	v_sub_f16_e32 v8, v6, v9
	v_add_f16_e32 v6, v22, v6
	v_fmac_f16_e32 v22, -0.5, v18
	v_sub_f16_e32 v2, v2, v11
	v_fmac_f16_e32 v12, 0xbaee, v7
	v_fmamk_f16 v7, v8, 0x3aee, v0
	v_fmac_f16_e32 v0, 0xbaee, v8
	v_add_f16_e32 v6, v6, v9
	v_fmamk_f16 v8, v2, 0xbaee, v22
	v_fmac_f16_e32 v22, 0x3aee, v2
	v_mul_f16_e32 v2, 0xbaee, v7
	v_mul_f16_e32 v7, 0.5, v7
	v_mul_f16_e32 v9, 0xbaee, v0
	v_mul_f16_e32 v0, -0.5, v0
	v_add_f16_e32 v11, v21, v11
	v_fmac_f16_e32 v2, 0.5, v8
	v_fmac_f16_e32 v7, 0x3aee, v8
	v_fmac_f16_e32 v9, -0.5, v22
	v_fmac_f16_e32 v0, 0x3aee, v22
	v_add_f16_e32 v18, v10, v6
	v_add_f16_e32 v8, v17, v2
	;; [unrolled: 1-line block ×6, first 2 shown]
	v_sub_f16_e32 v6, v10, v6
	v_sub_f16_e32 v1, v1, v11
	;; [unrolled: 1-line block ×6, first 2 shown]
	v_pack_b32_f16 v7, v18, v22
	v_pack_b32_f16 v8, v8, v23
	;; [unrolled: 1-line block ×6, first 2 shown]
	ds_store_2addr_b32 v39, v7, v8 offset1:39
	ds_store_2addr_b32 v39, v9, v1 offset0:78 offset1:117
	ds_store_2addr_b32 v39, v2, v0 offset0:156 offset1:195
	global_wb scope:SCOPE_SE
	s_wait_dscnt 0x0
	s_barrier_signal -1
	s_barrier_wait -1
	global_inv scope:SCOPE_SE
	ds_load_2addr_b32 v[0:1], v19 offset0:106 offset1:223
	ds_load_2addr_b32 v[2:3], v27 offset1:117
	ds_load_2addr_b32 v[5:6], v20 offset0:84 offset1:201
	s_wait_dscnt 0x2
	v_lshrrev_b32_e32 v7, 16, v0
	v_lshrrev_b32_e32 v12, 16, v1
	s_wait_dscnt 0x0
	v_lshrrev_b32_e32 v9, 16, v5
	v_mul_f16_e32 v17, v47, v0
	v_lshrrev_b32_e32 v18, 16, v6
	v_mul_f16_e32 v11, v47, v7
	;; [unrolled: 2-line block ×3, first 2 shown]
	v_fma_f16 v7, v15, v7, -v17
	v_lshrrev_b32_e32 v10, 16, v3
	v_fmac_f16_e32 v11, v15, v0
	v_mul_f16_e32 v0, v46, v5
	v_fmac_f16_e32 v21, v16, v5
	v_mul_f16_e32 v5, v45, v1
	v_mul_f16_e32 v15, v45, v12
	s_delay_alu instid0(VALU_DEP_4) | instskip(SKIP_1) | instid1(VALU_DEP_4)
	v_fma_f16 v0, v16, v9, -v0
	v_mul_f16_e32 v9, v44, v18
	v_fma_f16 v5, v13, v12, -v5
	v_add_f16_e32 v12, v11, v21
	v_fmac_f16_e32 v15, v13, v1
	v_mul_f16_e32 v1, v44, v6
	v_add_f16_e32 v13, v7, v0
	v_fmac_f16_e32 v9, v14, v6
	v_add_f16_e32 v6, v2, v11
	v_fma_f16 v2, -0.5, v12, v2
	v_sub_f16_e32 v12, v7, v0
	v_add_f16_e32 v7, v8, v7
	v_fma_f16 v1, v14, v18, -v1
	v_fmac_f16_e32 v8, -0.5, v13
	v_sub_f16_e32 v11, v11, v21
	v_fmamk_f16 v13, v12, 0xbaee, v2
	v_add_f16_e32 v0, v7, v0
	v_add_f16_e32 v7, v15, v9
	v_fmac_f16_e32 v2, 0x3aee, v12
	v_fmamk_f16 v12, v11, 0x3aee, v8
	v_fmac_f16_e32 v8, 0xbaee, v11
	v_add_f16_e32 v11, v5, v1
	v_add_f16_e32 v14, v3, v15
	v_fmac_f16_e32 v3, -0.5, v7
	v_sub_f16_e32 v7, v5, v1
	v_add_f16_e32 v5, v10, v5
	v_fmac_f16_e32 v10, -0.5, v11
	v_sub_f16_e32 v11, v15, v9
	v_add_f16_e32 v6, v6, v21
	v_add_f16_e32 v9, v14, v9
	;; [unrolled: 1-line block ×3, first 2 shown]
	v_fmamk_f16 v14, v7, 0xbaee, v3
	v_fmamk_f16 v5, v11, 0x3aee, v10
	v_fmac_f16_e32 v3, 0x3aee, v7
	v_fmac_f16_e32 v10, 0xbaee, v11
	v_pack_b32_f16 v0, v6, v0
	v_pack_b32_f16 v1, v9, v1
	v_pack_b32_f16 v6, v13, v12
	v_pack_b32_f16 v5, v14, v5
	v_pack_b32_f16 v2, v2, v8
	v_pack_b32_f16 v3, v3, v10
	ds_store_2addr_b32 v27, v0, v1 offset1:117
	ds_store_2addr_b32 v19, v6, v5 offset0:106 offset1:223
	ds_store_2addr_b32 v20, v2, v3 offset0:84 offset1:201
	global_wb scope:SCOPE_SE
	s_wait_dscnt 0x0
	s_barrier_signal -1
	s_barrier_wait -1
	global_inv scope:SCOPE_SE
	s_and_b32 exec_lo, exec_lo, vcc_lo
	s_cbranch_execz .LBB0_15
; %bb.14:
	s_clause 0x6
	global_load_b32 v0, v25, s[20:21]
	global_load_b32 v1, v25, s[20:21] offset:216
	global_load_b32 v20, v25, s[20:21] offset:432
	;; [unrolled: 1-line block ×6, first 2 shown]
	v_add_nc_u32_e32 v5, 0x400, v25
	ds_load_b32 v16, v27
	ds_load_2addr_b32 v[6:7], v25 offset0:54 offset1:108
	v_mad_co_u64_u32 v[10:11], null, s0, v26, 0
	ds_load_2addr_b32 v[8:9], v25 offset0:162 offset1:216
	ds_load_2addr_b32 v[12:13], v5 offset0:14 offset1:68
	s_mov_b32 s24, 0xc201756d
	v_mad_co_u64_u32 v[2:3], null, s2, v4, 0
	s_mov_b32 s25, 0x3f5756ca
	s_mul_u64 s[22:23], s[0:1], 0xd8
	s_delay_alu instid0(VALU_DEP_1)
	v_mad_co_u64_u32 v[3:4], null, s3, v4, v[3:4]
	global_load_b32 v4, v25, s[20:21] offset:1512
	s_wait_dscnt 0x2
	v_lshrrev_b32_e32 v17, 16, v6
	v_lshrrev_b32_e32 v23, 16, v7
	v_lshlrev_b64_e32 v[2:3], 2, v[2:3]
	s_wait_dscnt 0x1
	v_lshrrev_b32_e32 v27, 16, v9
	s_wait_dscnt 0x0
	v_mad_co_u64_u32 v[14:15], null, s1, v26, v[11:12]
	v_lshrrev_b32_e32 v15, 16, v16
	v_lshrrev_b32_e32 v26, 16, v8
	;; [unrolled: 1-line block ×4, first 2 shown]
	v_mov_b32_e32 v11, v14
	s_wait_loadcnt 0x7
	v_lshrrev_b32_e32 v14, 16, v0
	s_wait_loadcnt 0x6
	v_lshrrev_b32_e32 v18, 16, v1
	;; [unrolled: 2-line block ×5, first 2 shown]
	v_mul_f16_e32 v32, v15, v14
	v_mul_f16_e32 v14, v16, v14
	v_mul_f16_e32 v33, v17, v18
	v_mul_f16_e32 v18, v6, v18
	v_mul_f16_e32 v34, v7, v19
	v_fmac_f16_e32 v32, v16, v0
	v_fma_f16 v0, v0, v15, -v14
	v_mul_f16_e32 v16, v23, v19
	v_fmac_f16_e32 v33, v6, v1
	v_fma_f16 v6, v1, v17, -v18
	v_cvt_f32_f16_e32 v14, v32
	v_cvt_f32_f16_e32 v0, v0
	v_fmac_f16_e32 v16, v7, v20
	v_cvt_f32_f16_e32 v7, v33
	v_cvt_f32_f16_e32 v6, v6
	v_cvt_f64_f32_e32 v[14:15], v14
	v_cvt_f64_f32_e32 v[0:1], v0
	v_cvt_f32_f16_e32 v36, v16
	v_cvt_f64_f32_e32 v[16:17], v7
	v_mul_f16_e32 v35, v26, v29
	v_mul_f16_e32 v29, v8, v29
	v_cvt_f64_f32_e32 v[18:19], v6
	v_fma_f16 v6, v20, v23, -v34
	v_mul_f16_e32 v32, v27, v30
	v_mul_f16_e32 v30, v9, v30
	v_fmac_f16_e32 v35, v8, v21
	v_fma_f16 v8, v21, v26, -v29
	v_cvt_f64_f32_e32 v[20:21], v36
	v_cvt_f32_f16_e32 v6, v6
	s_wait_loadcnt 0x2
	v_lshrrev_b32_e32 v31, 16, v24
	v_cvt_f32_f16_e32 v26, v35
	v_fmac_f16_e32 v32, v9, v22
	v_fma_f16 v9, v22, v27, -v30
	v_cvt_f64_f32_e32 v[22:23], v6
	v_mul_f16_e32 v33, v28, v31
	v_mul_f16_e32 v31, v12, v31
	v_cvt_f64_f32_e32 v[26:27], v26
	v_cvt_f32_f16_e32 v6, v8
	v_cvt_f32_f16_e32 v9, v9
	v_fmac_f16_e32 v33, v12, v24
	v_fma_f16 v8, v24, v28, -v31
	v_cvt_f32_f16_e32 v12, v32
	v_cvt_f64_f32_e32 v[28:29], v6
	s_wait_loadcnt 0x1
	v_lshrrev_b32_e32 v42, 16, v44
	v_cvt_f32_f16_e32 v6, v33
	v_cvt_f64_f32_e32 v[32:33], v9
	v_cvt_f64_f32_e32 v[30:31], v12
	v_lshlrev_b64_e32 v[9:10], 2, v[10:11]
	v_mul_f16_e32 v7, v45, v42
	v_cvt_f64_f32_e32 v[34:35], v6
	v_cvt_f32_f16_e32 v8, v8
	s_delay_alu instid0(VALU_DEP_3)
	v_fmac_f16_e32 v7, v13, v44
	v_mul_f64_e32 v[14:15], s[24:25], v[14:15]
	v_mul_f64_e32 v[11:12], s[24:25], v[0:1]
	;; [unrolled: 1-line block ×3, first 2 shown]
	v_add_co_u32 v0, vcc_lo, s8, v2
	v_mul_f64_e32 v[18:19], s[24:25], v[18:19]
	v_add_co_ci_u32_e32 v1, vcc_lo, s9, v3, vcc_lo
	s_delay_alu instid0(VALU_DEP_3)
	v_add_co_u32 v9, vcc_lo, v0, v9
	v_mul_f16_e32 v0, v13, v42
	v_mul_f64_e32 v[20:21], s[24:25], v[20:21]
	s_wait_alu 0xfffd
	v_add_co_ci_u32_e32 v10, vcc_lo, v1, v10, vcc_lo
	v_add_co_u32 v40, vcc_lo, v9, s22
	v_fma_f16 v0, v44, v45, -v0
	v_mul_f64_e32 v[22:23], s[24:25], v[22:23]
	s_wait_alu 0xfffd
	v_add_co_ci_u32_e32 v41, vcc_lo, s23, v10, vcc_lo
	v_mul_f64_e32 v[26:27], s[24:25], v[26:27]
	v_add_co_u32 v42, vcc_lo, v40, s22
	s_wait_alu 0xfffd
	s_delay_alu instid0(VALU_DEP_3)
	v_add_co_ci_u32_e32 v43, vcc_lo, s23, v41, vcc_lo
	v_cvt_f32_f16_e32 v7, v7
	v_mul_f64_e32 v[28:29], s[24:25], v[28:29]
	v_add_co_u32 v44, vcc_lo, v42, s22
	s_wait_alu 0xfffd
	v_add_co_ci_u32_e32 v45, vcc_lo, s23, v43, vcc_lo
	v_mul_f64_e32 v[30:31], s[24:25], v[30:31]
	v_mul_f64_e32 v[32:33], s[24:25], v[32:33]
	;; [unrolled: 1-line block ×3, first 2 shown]
	v_cvt_f64_f32_e32 v[36:37], v8
	v_cvt_f64_f32_e32 v[38:39], v7
	v_cvt_f32_f16_e32 v13, v0
	s_clause 0x2
	global_load_b32 v6, v25, s[20:21] offset:1728
	global_load_b32 v7, v25, s[20:21] offset:1944
	;; [unrolled: 1-line block ×3, first 2 shown]
	v_and_or_b32 v14, 0x1ff, v15, v14
	v_and_or_b32 v11, 0x1ff, v12, v11
	v_and_or_b32 v16, 0x1ff, v17, v16
	v_lshrrev_b32_e32 v24, 8, v15
	v_bfe_u32 v46, v17, 20, 11
	v_cmp_ne_u32_e32 vcc_lo, 0, v14
	v_and_or_b32 v18, 0x1ff, v19, v18
	v_bfe_u32 v48, v19, 20, 11
	v_lshrrev_b32_e32 v47, 8, v19
	v_sub_nc_u32_e32 v65, 0x3f1, v46
	s_wait_alu 0xfffd
	v_cndmask_b32_e64 v14, 0, 1, vcc_lo
	v_cmp_ne_u32_e32 vcc_lo, 0, v11
	v_and_or_b32 v20, 0x1ff, v21, v20
	v_bfe_u32 v50, v21, 20, 11
	v_sub_nc_u32_e32 v66, 0x3f1, v48
	v_and_or_b32 v14, 0xffe, v24, v14
	s_wait_alu 0xfffd
	v_cndmask_b32_e64 v11, 0, 1, vcc_lo
	v_cmp_ne_u32_e32 vcc_lo, 0, v16
	v_and_or_b32 v22, 0x1ff, v23, v22
	v_bfe_u32 v52, v23, 20, 11
	v_and_or_b32 v26, 0x1ff, v27, v26
	v_lshrrev_b32_e32 v49, 8, v21
	s_wait_alu 0xfffd
	v_cndmask_b32_e64 v16, 0, 1, vcc_lo
	v_cmp_ne_u32_e32 vcc_lo, 0, v18
	v_lshrrev_b32_e32 v51, 8, v23
	v_bfe_u32 v54, v27, 20, 11
	v_and_or_b32 v28, 0x1ff, v29, v28
	v_bfe_u32 v56, v29, 20, 11
	s_wait_alu 0xfffd
	v_cndmask_b32_e64 v18, 0, 1, vcc_lo
	v_cmp_ne_u32_e32 vcc_lo, 0, v20
	v_add_nc_u32_e32 v46, 0xfffffc10, v46
	v_and_or_b32 v30, 0x1ff, v31, v30
	v_and_or_b32 v32, 0x1ff, v33, v32
	;; [unrolled: 1-line block ×3, first 2 shown]
	s_wait_alu 0xfffd
	v_cndmask_b32_e64 v20, 0, 1, vcc_lo
	v_cmp_ne_u32_e32 vcc_lo, 0, v22
	v_mul_f64_e32 v[2:3], s[24:25], v[36:37]
	v_mul_f64_e32 v[0:1], s[24:25], v[38:39]
	v_bfe_u32 v36, v15, 20, 11
	v_lshrrev_b32_e32 v37, 8, v12
	s_wait_alu 0xfffd
	v_cndmask_b32_e64 v22, 0, 1, vcc_lo
	v_cmp_ne_u32_e32 vcc_lo, 0, v26
	v_bfe_u32 v38, v12, 20, 11
	v_lshrrev_b32_e32 v39, 8, v17
	v_sub_nc_u32_e32 v63, 0x3f1, v36
	v_add_nc_u32_e32 v36, 0xfffffc10, v36
	s_wait_alu 0xfffd
	v_cndmask_b32_e64 v26, 0, 1, vcc_lo
	v_cmp_ne_u32_e32 vcc_lo, 0, v28
	v_sub_nc_u32_e32 v64, 0x3f1, v38
	v_and_or_b32 v11, 0xffe, v37, v11
	v_add_nc_u32_e32 v38, 0xfffffc10, v38
	v_med3_i32 v24, v63, 0, 13
	s_wait_alu 0xfffd
	v_cndmask_b32_e64 v28, 0, 1, vcc_lo
	v_cmp_ne_u32_e32 vcc_lo, 0, v30
	v_med3_i32 v37, v64, 0, 13
	v_and_or_b32 v16, 0xffe, v39, v16
	v_or_b32_e32 v63, 0x1000, v14
	v_lshl_or_b32 v64, v36, 12, v14
	s_wait_alu 0xfffd
	v_cndmask_b32_e64 v30, 0, 1, vcc_lo
	v_cmp_ne_u32_e32 vcc_lo, 0, v32
	v_sub_nc_u32_e32 v67, 0x3f1, v50
	v_sub_nc_u32_e32 v68, 0x3f1, v52
	v_med3_i32 v39, v65, 0, 13
	v_and_or_b32 v18, 0xffe, v47, v18
	s_wait_alu 0xfffd
	v_cndmask_b32_e64 v32, 0, 1, vcc_lo
	v_cmp_ne_u32_e32 vcc_lo, 0, v34
	v_med3_i32 v47, v66, 0, 13
	v_or_b32_e32 v65, 0x1000, v11
	v_lshl_or_b32 v66, v38, 12, v11
	v_lshrrev_b32_e32 v53, 8, v27
	s_wait_alu 0xfffd
	v_cndmask_b32_e64 v34, 0, 1, vcc_lo
	v_cmp_ne_u32_e32 vcc_lo, 0, v14
	v_lshrrev_b32_e32 v55, 8, v29
	v_bfe_u32 v58, v31, 20, 11
	v_bfe_u32 v60, v33, 20, 11
	v_add_nc_u32_e32 v48, 0xfffffc10, v48
	s_wait_alu 0xfffd
	v_cndmask_b32_e64 v14, 0, 1, vcc_lo
	v_cmp_ne_u32_e32 vcc_lo, 0, v11
	v_sub_nc_u32_e32 v69, 0x3f1, v54
	v_sub_nc_u32_e32 v70, 0x3f1, v56
	v_and_or_b32 v20, 0xffe, v49, v20
	v_med3_i32 v49, v67, 0, 13
	s_wait_alu 0xfffd
	v_cndmask_b32_e64 v11, 0, 1, vcc_lo
	v_cmp_ne_u32_e32 vcc_lo, 0, v16
	v_and_or_b32 v22, 0xffe, v51, v22
	v_med3_i32 v51, v68, 0, 13
	v_or_b32_e32 v67, 0x1000, v16
	v_lshl_or_b32 v68, v46, 12, v16
	s_wait_alu 0xfffd
	v_cndmask_b32_e64 v16, 0, 1, vcc_lo
	v_cmp_ne_u32_e32 vcc_lo, 0, v18
	v_lshrrev_b32_e32 v57, 8, v31
	v_lshrrev_b32_e32 v59, 8, v33
	v_bfe_u32 v62, v35, 20, 11
	v_add_nc_u32_e32 v50, 0xfffffc10, v50
	v_sub_nc_u32_e32 v71, 0x3f1, v58
	v_sub_nc_u32_e32 v72, 0x3f1, v60
	v_and_or_b32 v26, 0xffe, v53, v26
	v_med3_i32 v53, v69, 0, 13
	v_and_or_b32 v28, 0xffe, v55, v28
	v_med3_i32 v55, v70, 0, 13
	v_or_b32_e32 v69, 0x1000, v18
	v_lshl_or_b32 v70, v48, 12, v18
	s_wait_alu 0xfffd
	v_cndmask_b32_e64 v18, 0, 1, vcc_lo
	v_cmp_ne_u32_e32 vcc_lo, 0, v20
	v_lshrrev_b32_e32 v61, 8, v35
	v_add_nc_u32_e32 v52, 0xfffffc10, v52
	v_sub_nc_u32_e32 v73, 0x3f1, v62
	v_and_or_b32 v30, 0xffe, v57, v30
	v_med3_i32 v57, v71, 0, 13
	v_and_or_b32 v32, 0xffe, v59, v32
	v_med3_i32 v59, v72, 0, 13
	v_or_b32_e32 v71, 0x1000, v20
	v_lshl_or_b32 v72, v50, 12, v20
	s_wait_alu 0xfffd
	v_cndmask_b32_e64 v20, 0, 1, vcc_lo
	v_cmp_ne_u32_e32 vcc_lo, 0, v22
	v_add_nc_u32_e32 v54, 0xfffffc10, v54
	v_and_or_b32 v34, 0xffe, v61, v34
	v_med3_i32 v61, v73, 0, 13
	v_or_b32_e32 v73, 0x1000, v22
	v_lshl_or_b32 v74, v52, 12, v22
	s_wait_alu 0xfffd
	v_cndmask_b32_e64 v22, 0, 1, vcc_lo
	v_cmp_ne_u32_e32 vcc_lo, 0, v26
	v_add_nc_u32_e32 v56, 0xfffffc10, v56
	v_or_b32_e32 v75, 0x1000, v26
	v_lshl_or_b32 v76, v54, 12, v26
	v_add_nc_u32_e32 v58, 0xfffffc10, v58
	s_wait_alu 0xfffd
	v_cndmask_b32_e64 v26, 0, 1, vcc_lo
	v_cmp_ne_u32_e32 vcc_lo, 0, v28
	v_or_b32_e32 v77, 0x1000, v28
	v_lshl_or_b32 v78, v56, 12, v28
	v_lshrrev_b32_e32 v85, v24, v63
	v_add_nc_u32_e32 v60, 0xfffffc10, v60
	s_wait_alu 0xfffd
	v_cndmask_b32_e64 v28, 0, 1, vcc_lo
	v_cmp_ne_u32_e32 vcc_lo, 0, v30
	v_or_b32_e32 v79, 0x1000, v30
	v_lshl_or_b32 v80, v58, 12, v30
	v_lshrrev_b32_e32 v86, v37, v65
	v_lshlrev_b32_e32 v24, v24, v85
	s_wait_alu 0xfffd
	v_cndmask_b32_e64 v30, 0, 1, vcc_lo
	v_cmp_ne_u32_e32 vcc_lo, 0, v32
	v_or_b32_e32 v81, 0x1000, v32
	v_lshl_or_b32 v82, v60, 12, v32
	v_lshrrev_b32_e32 v87, v39, v67
	v_lshlrev_b32_e32 v37, v37, v86
	s_wait_alu 0xfffd
	v_cndmask_b32_e64 v32, 0, 1, vcc_lo
	v_cmp_ne_u32_e32 vcc_lo, v24, v63
	v_lshl_or_b32 v14, v14, 9, 0x7c00
	v_lshrrev_b32_e32 v88, v47, v69
	v_lshlrev_b32_e32 v39, v39, v87
	v_lshrrev_b32_e32 v89, v49, v71
	s_wait_alu 0xfffd
	v_cndmask_b32_e64 v24, 0, 1, vcc_lo
	v_cmp_ne_u32_e32 vcc_lo, v37, v65
	v_lshl_or_b32 v26, v26, 9, 0x7c00
	v_lshlrev_b32_e32 v47, v47, v88
	v_lshl_or_b32 v16, v16, 9, 0x7c00
	v_lshrrev_b32_e32 v90, v51, v73
	s_wait_alu 0xfffd
	v_cndmask_b32_e64 v37, 0, 1, vcc_lo
	v_cmp_ne_u32_e32 vcc_lo, v39, v67
	v_lshlrev_b32_e32 v49, v49, v89
	v_lshl_or_b32 v20, v20, 9, 0x7c00
	v_lshrrev_b32_e32 v91, v53, v75
	v_lshlrev_b32_e32 v51, v51, v90
	s_wait_alu 0xfffd
	v_cndmask_b32_e64 v39, 0, 1, vcc_lo
	v_cmp_ne_u32_e32 vcc_lo, v47, v69
	v_lshl_or_b32 v18, v18, 9, 0x7c00
	v_lshrrev_b32_e32 v92, v55, v77
	v_lshlrev_b32_e32 v53, v53, v91
	v_lshrrev_b32_e32 v93, v57, v79
	s_wait_alu 0xfffd
	v_cndmask_b32_e64 v47, 0, 1, vcc_lo
	v_cmp_ne_u32_e32 vcc_lo, v49, v71
	v_lshl_or_b32 v30, v30, 9, 0x7c00
	v_lshlrev_b32_e32 v55, v55, v92
	v_or_b32_e32 v83, 0x1000, v34
	v_lshl_or_b32 v22, v22, 9, 0x7c00
	s_wait_alu 0xfffd
	v_cndmask_b32_e64 v49, 0, 1, vcc_lo
	v_cmp_ne_u32_e32 vcc_lo, v51, v73
	v_lshrrev_b32_e32 v94, v59, v81
	v_lshlrev_b32_e32 v57, v57, v93
	v_lshrrev_b32_e32 v95, v61, v83
	v_lshl_or_b32 v28, v28, 9, 0x7c00
	s_wait_alu 0xfffd
	v_cndmask_b32_e64 v51, 0, 1, vcc_lo
	v_cmp_ne_u32_e32 vcc_lo, v53, v75
	v_lshlrev_b32_e32 v59, v59, v94
	v_lshlrev_b32_e32 v61, v61, v95
	v_or_b32_e32 v24, v85, v24
	v_or_b32_e32 v37, v86, v37
	s_wait_alu 0xfffd
	v_cndmask_b32_e64 v53, 0, 1, vcc_lo
	v_cmp_ne_u32_e32 vcc_lo, v55, v77
	v_or_b32_e32 v39, v87, v39
	v_or_b32_e32 v47, v88, v47
	;; [unrolled: 1-line block ×4, first 2 shown]
	s_wait_alu 0xfffd
	v_cndmask_b32_e64 v55, 0, 1, vcc_lo
	v_cmp_ne_u32_e32 vcc_lo, v57, v79
	v_or_b32_e32 v53, v91, v53
	v_lshl_or_b32 v32, v32, 9, 0x7c00
	v_lshl_or_b32 v11, v11, 9, 0x7c00
	v_or_b32_e32 v55, v92, v55
	s_wait_alu 0xfffd
	v_cndmask_b32_e64 v57, 0, 1, vcc_lo
	v_cmp_ne_u32_e32 vcc_lo, v59, v81
	v_lshrrev_b32_e32 v15, 16, v15
	v_lshrrev_b32_e32 v12, 16, v12
	;; [unrolled: 1-line block ×3, first 2 shown]
	v_or_b32_e32 v57, v93, v57
	s_wait_alu 0xfffd
	v_cndmask_b32_e64 v59, 0, 1, vcc_lo
	v_cmp_ne_u32_e32 vcc_lo, v61, v83
	v_lshrrev_b32_e32 v21, 16, v21
	v_lshrrev_b32_e32 v19, 16, v19
	;; [unrolled: 1-line block ×3, first 2 shown]
	v_or_b32_e32 v59, v94, v59
	s_wait_alu 0xfffd
	v_cndmask_b32_e64 v61, 0, 1, vcc_lo
	v_cmp_gt_i32_e32 vcc_lo, 1, v36
	v_lshrrev_b32_e32 v23, 16, v23
	v_lshrrev_b32_e32 v29, 16, v29
	v_and_or_b32 v2, 0x1ff, v3, v2
	v_or_b32_e32 v61, v95, v61
	s_wait_alu 0xfffd
	v_cndmask_b32_e32 v24, v64, v24, vcc_lo
	v_cmp_gt_i32_e32 vcc_lo, 1, v38
	v_lshrrev_b32_e32 v31, 16, v31
	v_lshrrev_b32_e32 v33, 16, v33
	v_and_or_b32 v0, 0x1ff, v1, v0
	v_and_b32_e32 v63, 7, v24
	s_wait_alu 0xfffd
	v_cndmask_b32_e32 v37, v66, v37, vcc_lo
	v_cmp_gt_i32_e32 vcc_lo, 1, v46
	v_lshrrev_b32_e32 v24, 2, v24
	v_cmp_eq_u32_e64 s0, 3, v63
	s_wait_alu 0xfffd
	v_dual_cndmask_b32 v39, v68, v39 :: v_dual_and_b32 v64, 7, v37
	v_cmp_gt_i32_e32 vcc_lo, 1, v48
	v_lshrrev_b32_e32 v37, 2, v37
	s_delay_alu instid0(VALU_DEP_3)
	v_cmp_lt_i32_e64 s1, 5, v64
	v_cmp_eq_u32_e64 s2, 3, v64
	s_wait_alu 0xfffd
	v_cndmask_b32_e32 v47, v70, v47, vcc_lo
	v_cmp_gt_i32_e32 vcc_lo, 1, v50
	v_and_b32_e32 v65, 7, v39
	v_lshrrev_b32_e32 v39, 2, v39
	s_wait_alu 0xfffd
	v_cndmask_b32_e32 v49, v72, v49, vcc_lo
	v_cmp_gt_i32_e32 vcc_lo, 1, v52
	v_cmp_lt_i32_e64 s3, 5, v65
	v_cmp_eq_u32_e64 s4, 3, v65
	s_delay_alu instid0(VALU_DEP_4)
	v_and_b32_e32 v67, 7, v49
	s_wait_alu 0xfffd
	v_cndmask_b32_e32 v51, v74, v51, vcc_lo
	v_cmp_gt_i32_e32 vcc_lo, 1, v54
	v_lshrrev_b32_e32 v49, 2, v49
	v_cmp_lt_i32_e64 s7, 5, v67
	v_cmp_eq_u32_e64 s8, 3, v67
	s_wait_alu 0xfffd
	v_cndmask_b32_e32 v53, v76, v53, vcc_lo
	v_cmp_gt_i32_e32 vcc_lo, 1, v56
	s_delay_alu instid0(VALU_DEP_2)
	v_and_b32_e32 v69, 7, v53
	s_wait_alu 0xfffd
	v_cndmask_b32_e32 v55, v78, v55, vcc_lo
	v_cmp_gt_i32_e32 vcc_lo, 1, v58
	v_lshrrev_b32_e32 v53, 2, v53
	v_cmp_lt_i32_e64 s11, 5, v69
	v_cmp_eq_u32_e64 s12, 3, v69
	s_wait_alu 0xfffd
	v_cndmask_b32_e32 v57, v80, v57, vcc_lo
	v_cmp_gt_i32_e32 vcc_lo, 1, v60
	s_delay_alu instid0(VALU_DEP_2)
	v_and_b32_e32 v71, 7, v57
	s_wait_alu 0xfffd
	v_cndmask_b32_e32 v59, v82, v59, vcc_lo
	v_cmp_lt_i32_e32 vcc_lo, 5, v63
	v_lshrrev_b32_e32 v57, 2, v57
	v_cmp_lt_i32_e64 s15, 5, v71
	v_cmp_eq_u32_e64 s16, 3, v71
	s_or_b32 vcc_lo, s0, vcc_lo
	s_wait_alu 0xfffe
	v_add_co_ci_u32_e32 v24, vcc_lo, 0, v24, vcc_lo
	s_or_b32 vcc_lo, s2, s1
	s_wait_alu 0xfffe
	v_add_co_ci_u32_e32 v37, vcc_lo, 0, v37, vcc_lo
	v_and_b32_e32 v66, 7, v47
	v_lshrrev_b32_e32 v47, 2, v47
	s_or_b32 vcc_lo, s4, s3
	s_wait_alu 0xfffe
	v_add_co_ci_u32_e32 v39, vcc_lo, 0, v39, vcc_lo
	v_cmp_lt_i32_e64 s5, 5, v66
	v_cmp_eq_u32_e64 s6, 3, v66
	s_delay_alu instid0(VALU_DEP_1)
	s_or_b32 vcc_lo, s6, s5
	s_wait_alu 0xfffe
	v_add_co_ci_u32_e32 v47, vcc_lo, 0, v47, vcc_lo
	s_or_b32 vcc_lo, s8, s7
	s_wait_alu 0xfffe
	v_add_co_ci_u32_e32 v49, vcc_lo, 0, v49, vcc_lo
	v_and_b32_e32 v68, 7, v51
	v_lshrrev_b32_e32 v51, 2, v51
	s_delay_alu instid0(VALU_DEP_2) | instskip(SKIP_1) | instid1(VALU_DEP_1)
	v_cmp_lt_i32_e64 s9, 5, v68
	v_cmp_eq_u32_e64 s10, 3, v68
	s_or_b32 vcc_lo, s10, s9
	s_wait_alu 0xfffe
	v_add_co_ci_u32_e32 v51, vcc_lo, 0, v51, vcc_lo
	s_or_b32 vcc_lo, s12, s11
	s_wait_alu 0xfffe
	v_add_co_ci_u32_e32 v53, vcc_lo, 0, v53, vcc_lo
	v_and_b32_e32 v70, 7, v55
	v_lshrrev_b32_e32 v55, 2, v55
	s_delay_alu instid0(VALU_DEP_2) | instskip(SKIP_1) | instid1(VALU_DEP_1)
	v_cmp_lt_i32_e64 s13, 5, v70
	v_cmp_eq_u32_e64 s14, 3, v70
	;; [unrolled: 11-line block ×3, first 2 shown]
	s_or_b32 vcc_lo, s18, s17
	s_wait_alu 0xfffe
	v_add_co_ci_u32_e32 v59, vcc_lo, 0, v59, vcc_lo
	v_cmp_gt_i32_e32 vcc_lo, 31, v36
	s_wait_alu 0xfffd
	v_cndmask_b32_e32 v24, 0x7c00, v24, vcc_lo
	v_cmp_gt_i32_e32 vcc_lo, 31, v38
	s_wait_alu 0xfffd
	v_cndmask_b32_e32 v37, 0x7c00, v37, vcc_lo
	;; [unrolled: 3-line block ×10, first 2 shown]
	v_cmp_eq_u32_e32 vcc_lo, 0x40f, v36
	s_wait_alu 0xfffd
	v_cndmask_b32_e32 v14, v24, v14, vcc_lo
	v_cmp_eq_u32_e32 vcc_lo, 0x40f, v38
	v_add_nc_u32_e32 v62, 0xfffffc10, v62
	s_delay_alu instid0(VALU_DEP_3)
	v_and_or_b32 v14, 0x8000, v15, v14
	s_wait_alu 0xfffd
	v_cndmask_b32_e32 v11, v37, v11, vcc_lo
	v_cmp_eq_u32_e32 vcc_lo, 0x40f, v46
	v_lshl_or_b32 v84, v62, 12, v34
	v_and_b32_e32 v14, 0xffff, v14
	s_delay_alu instid0(VALU_DEP_4) | instskip(SKIP_3) | instid1(VALU_DEP_3)
	v_and_or_b32 v11, 0x8000, v12, v11
	s_wait_alu 0xfffd
	v_cndmask_b32_e32 v16, v39, v16, vcc_lo
	v_cmp_eq_u32_e32 vcc_lo, 0x40f, v48
	v_lshl_or_b32 v11, v11, 16, v14
	s_delay_alu instid0(VALU_DEP_3) | instskip(SKIP_3) | instid1(VALU_DEP_3)
	v_and_or_b32 v12, 0x8000, v17, v16
	s_wait_alu 0xfffd
	v_cndmask_b32_e32 v18, v47, v18, vcc_lo
	v_cmp_eq_u32_e32 vcc_lo, 0x40f, v50
	v_and_b32_e32 v12, 0xffff, v12
	s_delay_alu instid0(VALU_DEP_3) | instskip(SKIP_3) | instid1(VALU_DEP_3)
	v_and_or_b32 v15, 0x8000, v19, v18
	s_wait_alu 0xfffd
	v_cndmask_b32_e32 v20, v49, v20, vcc_lo
	v_cmp_eq_u32_e32 vcc_lo, 0x40f, v52
	v_lshl_or_b32 v12, v15, 16, v12
	s_delay_alu instid0(VALU_DEP_3)
	v_and_or_b32 v16, 0x8000, v21, v20
	s_wait_alu 0xfffd
	v_cndmask_b32_e32 v22, v51, v22, vcc_lo
	v_cmp_eq_u32_e32 vcc_lo, 0x40f, v54
	s_wait_loadcnt 0x3
	v_lshrrev_b32_e32 v21, 16, v4
	v_and_b32_e32 v16, 0xffff, v16
	v_and_or_b32 v17, 0x8000, v23, v22
	s_wait_alu 0xfffd
	v_cndmask_b32_e32 v24, v53, v26, vcc_lo
	v_cmp_eq_u32_e32 vcc_lo, 0x40f, v56
	s_delay_alu instid0(VALU_DEP_3) | instskip(NEXT) | instid1(VALU_DEP_3)
	v_lshl_or_b32 v14, v17, 16, v16
	v_and_or_b32 v18, 0x8000, v27, v24
	s_wait_alu 0xfffd
	v_cndmask_b32_e32 v26, v55, v28, vcc_lo
	v_cmp_eq_u32_e32 vcc_lo, 0x40f, v58
	v_bfe_u32 v24, v1, 20, 11
	v_and_b32_e32 v18, 0xffff, v18
	s_delay_alu instid0(VALU_DEP_4) | instskip(SKIP_3) | instid1(VALU_DEP_3)
	v_and_or_b32 v19, 0x8000, v29, v26
	s_wait_alu 0xfffd
	v_cndmask_b32_e32 v28, v57, v30, vcc_lo
	v_cmp_eq_u32_e32 vcc_lo, 0x40f, v60
	v_lshl_or_b32 v15, v19, 16, v18
	s_clause 0x3
	global_store_b32 v[9:10], v11, off
	global_store_b32 v[40:41], v12, off
	;; [unrolled: 1-line block ×4, first 2 shown]
	s_wait_alu 0xfffd
	v_cndmask_b32_e32 v20, v59, v32, vcc_lo
	v_cmp_gt_i32_e32 vcc_lo, 1, v62
	v_cvt_f64_f32_e32 v[9:10], v13
	ds_load_2addr_b32 v[11:12], v5 offset0:122 offset1:176
	v_lshrrev_b32_e32 v5, 8, v3
	v_bfe_u32 v15, v3, 20, 11
	s_wait_alu 0xfffd
	v_cndmask_b32_e32 v14, v84, v61, vcc_lo
	v_cmp_ne_u32_e32 vcc_lo, 0, v2
	v_and_or_b32 v16, 0x8000, v31, v28
	v_and_or_b32 v17, 0x8000, v33, v20
	v_add_nc_u32_e32 v27, 0xfffffc10, v15
	v_and_b32_e32 v13, 7, v14
	s_wait_alu 0xfffd
	v_cndmask_b32_e64 v2, 0, 1, vcc_lo
	v_and_b32_e32 v16, 0xffff, v16
	global_load_b32 v26, v25, s[20:21] offset:2376
	v_lshrrev_b32_e32 v3, 16, v3
	v_cmp_lt_i32_e32 vcc_lo, 5, v13
	v_cmp_eq_u32_e64 s0, 3, v13
	v_and_or_b32 v2, 0xffe, v5, v2
	v_sub_nc_u32_e32 v5, 0x3f1, v15
	v_lshrrev_b32_e32 v13, 2, v14
	v_lshl_or_b32 v17, v17, 16, v16
	s_or_b32 vcc_lo, s0, vcc_lo
	v_or_b32_e32 v18, 0x1000, v2
	v_med3_i32 v5, v5, 0, 13
	s_wait_alu 0xfffe
	v_add_co_ci_u32_e32 v16, vcc_lo, 0, v13, vcc_lo
	v_add_co_u32 v13, vcc_lo, v44, s22
	s_wait_alu 0xfffd
	v_add_co_ci_u32_e32 v14, vcc_lo, s23, v45, vcc_lo
	v_lshrrev_b32_e32 v19, v5, v18
	v_cmp_gt_i32_e32 vcc_lo, 31, v62
	s_wait_dscnt 0x0
	v_lshrrev_b32_e32 v20, 16, v11
	global_store_b32 v[13:14], v17, off
	s_wait_alu 0xfffd
	v_dual_cndmask_b32 v22, 0x7c00, v16 :: v_dual_lshlrev_b32 v5, v5, v19
	v_cmp_ne_u32_e32 vcc_lo, 0, v34
	v_mul_f16_e32 v16, v20, v21
	v_mul_f64_e32 v[9:10], s[24:25], v[9:10]
	s_wait_alu 0xfffd
	v_cndmask_b32_e64 v23, 0, 1, vcc_lo
	v_cmp_ne_u32_e32 vcc_lo, v5, v18
	v_fmac_f16_e32 v16, v11, v4
	v_lshrrev_b32_e32 v18, 8, v1
	v_mul_f16_e32 v11, v11, v21
	v_lshl_or_b32 v23, v23, 9, 0x7c00
	s_wait_alu 0xfffd
	v_cndmask_b32_e64 v5, 0, 1, vcc_lo
	v_cmp_ne_u32_e32 vcc_lo, 0, v0
	v_cvt_f32_f16_e32 v16, v16
	v_fma_f16 v4, v4, v20, -v11
	s_delay_alu instid0(VALU_DEP_4)
	v_or_b32_e32 v5, v19, v5
	s_wait_alu 0xfffd
	v_cndmask_b32_e64 v0, 0, 1, vcc_lo
	v_cvt_f64_f32_e32 v[15:16], v16
	v_lshl_or_b32 v19, v27, 12, v2
	v_cmp_gt_i32_e32 vcc_lo, 1, v27
	v_cvt_f32_f16_e32 v4, v4
	v_and_or_b32 v0, 0xffe, v18, v0
	v_sub_nc_u32_e32 v18, 0x3f1, v24
	s_wait_alu 0xfffd
	v_cndmask_b32_e32 v5, v19, v5, vcc_lo
	v_cmp_eq_u32_e32 vcc_lo, 0x40f, v62
	v_or_b32_e32 v28, 0x1000, v0
	v_med3_i32 v18, v18, 0, 13
	s_delay_alu instid0(VALU_DEP_4)
	v_and_b32_e32 v29, 7, v5
	s_wait_alu 0xfffd
	v_cndmask_b32_e32 v19, v22, v23, vcc_lo
	v_lshrrev_b32_e32 v22, 16, v35
	v_lshrrev_b32_e32 v23, v18, v28
	;; [unrolled: 1-line block ×3, first 2 shown]
	v_cmp_lt_i32_e32 vcc_lo, 5, v29
	v_cmp_eq_u32_e64 s0, 3, v29
	v_and_or_b32 v17, 0x8000, v22, v19
	v_lshlrev_b32_e32 v18, v18, v23
	v_and_or_b32 v9, 0x1ff, v10, v9
	s_delay_alu instid0(VALU_DEP_4) | instskip(SKIP_1) | instid1(VALU_DEP_3)
	s_or_b32 vcc_lo, s0, vcc_lo
	v_bfe_u32 v21, v10, 20, 11
	v_cmp_ne_u32_e64 s1, v18, v28
	s_wait_alu 0xfffe
	v_add_co_ci_u32_e32 v19, vcc_lo, 0, v5, vcc_lo
	v_add_nc_u32_e32 v18, 0xfffffc10, v24
	v_cmp_ne_u32_e32 vcc_lo, 0, v2
	s_wait_alu 0xf1ff
	v_cndmask_b32_e64 v11, 0, 1, s1
	v_cvt_f64_f32_e32 v[4:5], v4
	v_cmp_eq_u32_e64 s1, 0x40f, v27
	v_lshl_or_b32 v20, v18, 12, v0
	s_wait_alu 0xfffd
	v_cndmask_b32_e64 v2, 0, 1, vcc_lo
	v_or_b32_e32 v11, v23, v11
	v_cmp_gt_i32_e32 vcc_lo, 1, v18
	v_and_b32_e32 v17, 0xffff, v17
	v_mul_f64_e32 v[15:16], s[24:25], v[15:16]
	v_lshl_or_b32 v2, v2, 9, 0x7c00
	s_wait_alu 0xfffd
	v_cndmask_b32_e32 v11, v20, v11, vcc_lo
	v_cmp_ne_u32_e32 vcc_lo, 0, v9
	v_lshrrev_b32_e32 v20, 8, v10
	s_delay_alu instid0(VALU_DEP_3)
	v_and_b32_e32 v22, 7, v11
	s_wait_alu 0xfffd
	v_cndmask_b32_e64 v9, 0, 1, vcc_lo
	v_cmp_gt_i32_e32 vcc_lo, 31, v27
	v_lshrrev_b32_e32 v11, 2, v11
	v_cmp_eq_u32_e64 s0, 3, v22
	s_delay_alu instid0(VALU_DEP_4)
	v_and_or_b32 v9, 0xffe, v20, v9
	v_sub_nc_u32_e32 v20, 0x3f1, v21
	s_wait_alu 0xfffd
	v_cndmask_b32_e32 v19, 0x7c00, v19, vcc_lo
	v_cmp_lt_i32_e32 vcc_lo, 5, v22
	v_add_nc_u32_e32 v21, 0xfffffc10, v21
	v_or_b32_e32 v22, 0x1000, v9
	v_med3_i32 v20, v20, 0, 13
	s_wait_alu 0xf1ff
	v_cndmask_b32_e64 v2, v19, v2, s1
	s_or_b32 vcc_lo, s0, vcc_lo
	s_wait_alu 0xfffe
	v_add_co_ci_u32_e32 v11, vcc_lo, 0, v11, vcc_lo
	v_lshrrev_b32_e32 v19, v20, v22
	v_cmp_gt_i32_e32 vcc_lo, 31, v18
	v_and_or_b32 v23, 0x8000, v3, v2
	s_delay_alu instid0(VALU_DEP_3)
	v_lshlrev_b32_e32 v2, v20, v19
	s_wait_alu 0xfffd
	v_cndmask_b32_e32 v11, 0x7c00, v11, vcc_lo
	v_cmp_ne_u32_e32 vcc_lo, 0, v0
	v_lshl_or_b32 v17, v23, 16, v17
	s_wait_alu 0xfffd
	v_cndmask_b32_e64 v0, 0, 1, vcc_lo
	v_cmp_ne_u32_e32 vcc_lo, v2, v22
	v_mul_f64_e32 v[2:3], s[24:25], v[4:5]
	v_lshrrev_b32_e32 v4, 16, v12
	s_wait_loadcnt 0x3
	v_lshrrev_b32_e32 v5, 16, v6
	v_and_or_b32 v15, 0x1ff, v16, v15
	s_wait_alu 0xfffd
	v_cndmask_b32_e64 v20, 0, 1, vcc_lo
	v_cmp_gt_i32_e32 vcc_lo, 1, v21
	v_lshl_or_b32 v0, v0, 9, 0x7c00
	v_mul_f16_e32 v22, v4, v5
	v_bfe_u32 v24, v16, 20, 11
	v_or_b32_e32 v19, v19, v20
	v_lshl_or_b32 v20, v21, 12, v9
	v_mul_f16_e32 v5, v12, v5
	v_fmac_f16_e32 v22, v12, v6
	s_wait_alu 0xfffd
	s_delay_alu instid0(VALU_DEP_3)
	v_cndmask_b32_e32 v19, v20, v19, vcc_lo
	v_cmp_ne_u32_e32 vcc_lo, 0, v15
	v_lshrrev_b32_e32 v20, 8, v16
	v_fma_f16 v4, v6, v4, -v5
	s_wait_alu 0xfffd
	v_cndmask_b32_e64 v15, 0, 1, vcc_lo
	v_cmp_eq_u32_e32 vcc_lo, 0x40f, v18
	v_and_b32_e32 v18, 7, v19
	v_cvt_f32_f16_e32 v4, v4
	s_delay_alu instid0(VALU_DEP_4)
	v_and_or_b32 v15, 0xffe, v20, v15
	s_wait_alu 0xfffd
	v_cndmask_b32_e32 v11, v11, v0, vcc_lo
	v_cvt_f32_f16_e32 v0, v22
	v_lshrrev_b32_e32 v22, 16, v1
	v_sub_nc_u32_e32 v20, 0x3f1, v24
	v_cmp_lt_i32_e32 vcc_lo, 5, v18
	v_cmp_eq_u32_e64 s0, 3, v18
	v_cvt_f64_f32_e32 v[0:1], v0
	v_lshrrev_b32_e32 v18, 2, v19
	v_or_b32_e32 v27, 0x1000, v15
	v_med3_i32 v20, v20, 0, 13
	s_or_b32 vcc_lo, s0, vcc_lo
	v_and_or_b32 v19, 0x8000, v22, v11
	s_wait_alu 0xfffe
	v_add_co_ci_u32_e32 v18, vcc_lo, 0, v18, vcc_lo
	v_lshrrev_b32_e32 v11, v20, v27
	v_cmp_ne_u32_e32 vcc_lo, 0, v9
	v_and_or_b32 v2, 0x1ff, v3, v2
	v_add_nc_u32_e32 v22, 0xfffffc10, v24
	v_bfe_u32 v23, v3, 20, 11
	v_lshlrev_b32_e32 v20, v20, v11
	s_wait_alu 0xfffd
	v_cndmask_b32_e64 v9, 0, 1, vcc_lo
	v_cmp_gt_i32_e32 vcc_lo, 31, v21
	v_lshrrev_b32_e32 v12, 8, v3
	v_sub_nc_u32_e32 v5, 0x3f1, v23
	v_and_b32_e32 v19, 0xffff, v19
	v_lshl_or_b32 v9, v9, 9, 0x7c00
	s_wait_alu 0xfffd
	v_cndmask_b32_e32 v18, 0x7c00, v18, vcc_lo
	v_cmp_ne_u32_e32 vcc_lo, v20, v27
	v_med3_i32 v24, v5, 0, 13
	v_cvt_f64_f32_e32 v[4:5], v4
	s_wait_alu 0xfffd
	v_cndmask_b32_e64 v20, 0, 1, vcc_lo
	v_cmp_ne_u32_e32 vcc_lo, 0, v2
	s_delay_alu instid0(VALU_DEP_2) | instskip(SKIP_4) | instid1(VALU_DEP_3)
	v_or_b32_e32 v11, v11, v20
	s_wait_alu 0xfffd
	v_cndmask_b32_e64 v2, 0, 1, vcc_lo
	v_lshl_or_b32 v20, v22, 12, v15
	v_cmp_gt_i32_e32 vcc_lo, 1, v22
	v_and_or_b32 v2, 0xffe, v12, v2
	v_mul_f64_e32 v[0:1], s[24:25], v[0:1]
	s_wait_alu 0xfffd
	v_dual_cndmask_b32 v6, v20, v11 :: v_dual_add_nc_u32 v11, 0x600, v25
	v_cmp_eq_u32_e32 vcc_lo, 0x40f, v21
	v_or_b32_e32 v20, 0x1000, v2
	v_lshrrev_b32_e32 v21, 16, v10
	s_delay_alu instid0(VALU_DEP_4)
	v_and_b32_e32 v27, 7, v6
	ds_load_2addr_b32 v[11:12], v11 offset0:102 offset1:156
	s_wait_alu 0xfffd
	v_cndmask_b32_e32 v18, v18, v9, vcc_lo
	v_lshrrev_b32_e32 v28, v24, v20
	v_add_co_u32 v9, vcc_lo, v13, s22
	s_wait_alu 0xfffd
	v_add_co_ci_u32_e32 v10, vcc_lo, s23, v14, vcc_lo
	s_delay_alu instid0(VALU_DEP_3)
	v_lshlrev_b32_e32 v13, v24, v28
	v_cmp_lt_i32_e32 vcc_lo, 5, v27
	v_cmp_eq_u32_e64 s0, 3, v27
	v_lshrrev_b32_e32 v6, 2, v6
	v_and_or_b32 v18, 0x8000, v21, v18
	v_cmp_ne_u32_e64 s1, v13, v20
	v_add_nc_u32_e32 v20, 0xfffffc10, v23
	s_or_b32 vcc_lo, s0, vcc_lo
	s_wait_loadcnt 0x2
	v_lshrrev_b32_e32 v23, 16, v7
	s_wait_alu 0xfffe
	v_add_co_ci_u32_e32 v6, vcc_lo, 0, v6, vcc_lo
	v_cndmask_b32_e64 v13, 0, 1, s1
	v_cmp_ne_u32_e32 vcc_lo, 0, v15
	s_wait_dscnt 0x0
	v_lshrrev_b32_e32 v21, 16, v11
	v_lshl_or_b32 v14, v20, 12, v2
	v_mul_f64_e32 v[4:5], s[24:25], v[4:5]
	v_or_b32_e32 v13, v28, v13
	s_wait_alu 0xfffd
	v_cndmask_b32_e64 v15, 0, 1, vcc_lo
	v_mul_f16_e32 v24, v21, v23
	v_cmp_gt_i32_e32 vcc_lo, 1, v20
	v_lshl_or_b32 v18, v18, 16, v19
	s_delay_alu instid0(VALU_DEP_3)
	v_fmac_f16_e32 v24, v11, v7
	s_wait_alu 0xfffd
	v_cndmask_b32_e32 v27, v14, v13, vcc_lo
	v_cmp_gt_i32_e32 vcc_lo, 31, v22
	v_lshl_or_b32 v13, v15, 9, 0x7c00
	v_and_or_b32 v0, 0x1ff, v1, v0
	v_cvt_f32_f16_e32 v14, v24
	s_wait_alu 0xfffd
	v_dual_cndmask_b32 v6, 0x7c00, v6 :: v_dual_and_b32 v15, 7, v27
	v_cmp_eq_u32_e32 vcc_lo, 0x40f, v22
	v_cmp_ne_u32_e64 s0, 0, v0
	v_lshrrev_b32_e32 v22, 8, v1
	v_bfe_u32 v24, v1, 20, 11
	v_mul_f16_e32 v11, v11, v23
	s_wait_alu 0xfffd
	v_cndmask_b32_e32 v6, v6, v13, vcc_lo
	v_cvt_f64_f32_e32 v[13:14], v14
	v_cmp_lt_i32_e32 vcc_lo, 5, v15
	s_wait_alu 0xf1ff
	v_cndmask_b32_e64 v0, 0, 1, s0
	v_cmp_eq_u32_e64 s0, 3, v15
	v_lshrrev_b32_e32 v15, 16, v16
	v_lshrrev_b32_e32 v16, 2, v27
	v_fma_f16 v7, v7, v21, -v11
	v_and_or_b32 v0, 0xffe, v22, v0
	s_or_b32 vcc_lo, s0, vcc_lo
	v_sub_nc_u32_e32 v22, 0x3f1, v24
	s_wait_alu 0xfffe
	v_add_co_ci_u32_e32 v16, vcc_lo, 0, v16, vcc_lo
	v_cmp_ne_u32_e32 vcc_lo, 0, v2
	v_or_b32_e32 v27, 0x1000, v0
	v_med3_i32 v22, v22, 0, 13
	v_and_or_b32 v6, 0x8000, v15, v6
	v_and_or_b32 v4, 0x1ff, v5, v4
	s_wait_alu 0xfffd
	v_cndmask_b32_e64 v2, 0, 1, vcc_lo
	v_cmp_gt_i32_e32 vcc_lo, 31, v20
	v_lshrrev_b32_e32 v19, v22, v27
	v_lshrrev_b32_e32 v11, 8, v5
	v_bfe_u32 v21, v5, 20, 11
	v_lshl_or_b32 v2, v2, 9, 0x7c00
	s_wait_alu 0xfffd
	v_cndmask_b32_e32 v16, 0x7c00, v16, vcc_lo
	v_cmp_eq_u32_e32 vcc_lo, 0x40f, v20
	v_lshlrev_b32_e32 v20, v22, v19
	v_cvt_f32_f16_e32 v7, v7
	v_lshrrev_b32_e32 v1, 16, v1
	v_lshrrev_b32_e32 v5, 16, v5
	s_wait_alu 0xfffd
	v_cndmask_b32_e32 v15, v16, v2, vcc_lo
	v_add_co_u32 v2, vcc_lo, v9, s22
	v_lshrrev_b32_e32 v16, 16, v3
	s_wait_alu 0xfffd
	v_add_co_ci_u32_e32 v3, vcc_lo, s23, v10, vcc_lo
	v_cmp_ne_u32_e32 vcc_lo, v20, v27
	v_add_nc_u32_e32 v20, 0xfffffc10, v24
	v_and_or_b32 v15, 0x8000, v16, v15
	v_and_b32_e32 v16, 0xffff, v6
	v_mul_f64_e32 v[13:14], s[24:25], v[13:14]
	s_wait_alu 0xfffd
	v_cndmask_b32_e64 v6, 0, 1, vcc_lo
	v_cmp_ne_u32_e32 vcc_lo, 0, v4
	global_store_b32 v[9:10], v17, off
	global_store_b32 v[2:3], v18, off
	v_lshl_or_b32 v15, v15, 16, v16
	v_lshrrev_b32_e32 v16, 16, v12
	v_or_b32_e32 v6, v19, v6
	s_wait_alu 0xfffd
	v_cndmask_b32_e64 v4, 0, 1, vcc_lo
	v_lshl_or_b32 v19, v20, 12, v0
	v_cmp_gt_i32_e32 vcc_lo, 1, v20
	s_wait_loadcnt 0x1
	v_lshrrev_b32_e32 v17, 16, v8
	v_add_nc_u32_e32 v18, 0xfffffc10, v21
	v_and_or_b32 v4, 0xffe, v11, v4
	v_sub_nc_u32_e32 v11, 0x3f1, v21
	s_wait_alu 0xfffd
	v_cndmask_b32_e32 v19, v19, v6, vcc_lo
	v_cvt_f64_f32_e32 v[6:7], v7
	v_add_co_u32 v2, vcc_lo, v2, s22
	v_or_b32_e32 v22, 0x1000, v4
	v_med3_i32 v11, v11, 0, 13
	v_and_b32_e32 v9, 7, v19
	s_wait_alu 0xfffd
	v_add_co_ci_u32_e32 v3, vcc_lo, s23, v3, vcc_lo
	s_delay_alu instid0(VALU_DEP_3) | instskip(NEXT) | instid1(VALU_DEP_3)
	v_lshrrev_b32_e32 v10, v11, v22
	v_cmp_lt_i32_e32 vcc_lo, 5, v9
	v_cmp_eq_u32_e64 s0, 3, v9
	v_lshrrev_b32_e32 v9, 2, v19
	v_mul_f16_e32 v19, v16, v17
	v_lshlrev_b32_e32 v11, v11, v10
	s_delay_alu instid0(VALU_DEP_4) | instskip(SKIP_2) | instid1(VALU_DEP_2)
	s_or_b32 vcc_lo, s0, vcc_lo
	s_wait_alu 0xfffe
	v_add_co_ci_u32_e32 v21, vcc_lo, 0, v9, vcc_lo
	v_cmp_ne_u32_e64 s1, v11, v22
	v_cmp_ne_u32_e32 vcc_lo, 0, v0
	v_fmac_f16_e32 v19, v12, v8
	v_lshrrev_b32_e32 v22, 8, v14
	v_mul_f16_e32 v12, v12, v17
	s_wait_alu 0xf1ff
	v_cndmask_b32_e64 v11, 0, 1, s1
	s_wait_alu 0xfffd
	v_cndmask_b32_e64 v0, 0, 1, vcc_lo
	v_cmp_gt_i32_e32 vcc_lo, 1, v18
	v_cmp_eq_u32_e64 s1, 0x40f, v20
	v_fma_f16 v8, v8, v16, -v12
	v_or_b32_e32 v9, v10, v11
	v_lshl_or_b32 v10, v18, 12, v4
	v_and_or_b32 v11, 0x1ff, v14, v13
	v_cvt_f32_f16_e32 v13, v19
	v_lshl_or_b32 v0, v0, 9, 0x7c00
	v_cvt_f32_f16_e32 v8, v8
	s_wait_alu 0xfffd
	v_cndmask_b32_e32 v19, v10, v9, vcc_lo
	v_cmp_ne_u32_e32 vcc_lo, 0, v11
	v_cvt_f64_f32_e32 v[9:10], v13
	v_bfe_u32 v13, v14, 20, 11
	v_mul_f64_e32 v[6:7], s[24:25], v[6:7]
	v_and_b32_e32 v23, 7, v19
	s_wait_alu 0xfffd
	v_cndmask_b32_e64 v11, 0, 1, vcc_lo
	v_cmp_gt_i32_e32 vcc_lo, 31, v20
	v_lshrrev_b32_e32 v19, 2, v19
	v_cmp_eq_u32_e64 s0, 3, v23
	s_delay_alu instid0(VALU_DEP_4)
	v_and_or_b32 v11, 0xffe, v22, v11
	v_sub_nc_u32_e32 v22, 0x3f1, v13
	s_wait_alu 0xfffd
	v_cndmask_b32_e32 v21, 0x7c00, v21, vcc_lo
	v_cmp_lt_i32_e32 vcc_lo, 5, v23
	v_add_nc_u32_e32 v13, 0xfffffc10, v13
	v_or_b32_e32 v23, 0x1000, v11
	v_med3_i32 v22, v22, 0, 13
	s_wait_alu 0xf1ff
	v_cndmask_b32_e64 v0, v21, v0, s1
	s_or_b32 vcc_lo, s0, vcc_lo
	v_lshl_or_b32 v17, v13, 12, v11
	s_wait_alu 0xfffe
	v_add_co_ci_u32_e32 v19, vcc_lo, 0, v19, vcc_lo
	v_lshrrev_b32_e32 v20, v22, v23
	v_cmp_ne_u32_e32 vcc_lo, 0, v4
	v_and_or_b32 v21, 0x8000, v1, v0
	s_delay_alu instid0(VALU_DEP_3) | instskip(SKIP_4) | instid1(VALU_DEP_3)
	v_lshlrev_b32_e32 v0, v22, v20
	s_wait_alu 0xfffd
	v_cndmask_b32_e64 v4, 0, 1, vcc_lo
	v_cmp_gt_i32_e32 vcc_lo, 31, v18
	v_and_b32_e32 v21, 0xffff, v21
	v_lshl_or_b32 v4, v4, 9, 0x7c00
	s_wait_alu 0xfffd
	v_cndmask_b32_e32 v1, 0x7c00, v19, vcc_lo
	v_cmp_ne_u32_e32 vcc_lo, v0, v23
	v_add_nc_u32_e32 v19, 0x800, v25
	v_mul_f64_e32 v[9:10], s[24:25], v[9:10]
	s_wait_alu 0xfffd
	v_cndmask_b32_e64 v22, 0, 1, vcc_lo
	v_cmp_eq_u32_e32 vcc_lo, 0x40f, v18
	v_and_or_b32 v6, 0x1ff, v7, v6
	v_lshrrev_b32_e32 v16, 8, v7
	s_delay_alu instid0(VALU_DEP_4)
	v_or_b32_e32 v18, v20, v22
	s_wait_alu 0xfffd
	v_cndmask_b32_e32 v4, v1, v4, vcc_lo
	ds_load_2addr_b32 v[0:1], v19 offset0:82 offset1:136
	v_cmp_gt_i32_e32 vcc_lo, 1, v13
	s_wait_loadcnt 0x0
	v_lshrrev_b32_e32 v20, 16, v26
	s_wait_alu 0xfffd
	v_cndmask_b32_e32 v12, v17, v18, vcc_lo
	v_cmp_ne_u32_e32 vcc_lo, 0, v6
	v_bfe_u32 v17, v7, 20, 11
	v_and_or_b32 v18, 0x8000, v5, v4
	v_cvt_f64_f32_e32 v[4:5], v8
	v_and_b32_e32 v19, 7, v12
	s_wait_alu 0xfffd
	v_cndmask_b32_e64 v6, 0, 1, vcc_lo
	v_sub_nc_u32_e32 v8, 0x3f1, v17
	v_lshrrev_b32_e32 v12, 2, v12
	v_lshl_or_b32 v18, v18, 16, v21
	v_cmp_lt_i32_e32 vcc_lo, 5, v19
	v_and_or_b32 v6, 0xffe, v16, v6
	v_cmp_eq_u32_e64 s0, 3, v19
	v_med3_i32 v8, v8, 0, 13
	s_wait_dscnt 0x0
	v_lshrrev_b32_e32 v16, 16, v0
	v_add_nc_u32_e32 v17, 0xfffffc10, v17
	v_or_b32_e32 v22, 0x1000, v6
	s_or_b32 vcc_lo, s0, vcc_lo
	s_delay_alu instid0(VALU_DEP_3)
	v_mul_f16_e32 v23, v16, v20
	s_wait_alu 0xfffe
	v_add_co_ci_u32_e32 v12, vcc_lo, 0, v12, vcc_lo
	v_lshrrev_b32_e32 v19, v8, v22
	v_cmp_ne_u32_e32 vcc_lo, 0, v11
	v_fmac_f16_e32 v23, v0, v26
	v_mul_f16_e32 v0, v0, v20
	v_lshrrev_b32_e32 v20, 8, v10
	v_lshlrev_b32_e32 v21, v8, v19
	s_wait_alu 0xfffd
	v_cndmask_b32_e64 v11, 0, 1, vcc_lo
	v_cvt_f32_f16_e32 v8, v23
	v_cmp_gt_i32_e32 vcc_lo, 31, v13
	v_fma_f16 v0, v26, v16, -v0
	v_lshl_or_b32 v16, v17, 12, v6
	v_lshl_or_b32 v24, v11, 9, 0x7c00
	v_and_or_b32 v11, 0x1ff, v10, v9
	s_wait_alu 0xfffd
	v_cndmask_b32_e32 v23, 0x7c00, v12, vcc_lo
	v_cvt_f64_f32_e32 v[8:9], v8
	v_cmp_ne_u32_e32 vcc_lo, v21, v22
	v_cvt_f32_f16_e32 v0, v0
	s_wait_alu 0xfffd
	v_cndmask_b32_e64 v12, 0, 1, vcc_lo
	v_cmp_ne_u32_e32 vcc_lo, 0, v11
	v_mul_f64_e32 v[4:5], s[24:25], v[4:5]
	s_delay_alu instid0(VALU_DEP_3)
	v_or_b32_e32 v12, v19, v12
	s_wait_alu 0xfffd
	v_cndmask_b32_e64 v11, 0, 1, vcc_lo
	v_bfe_u32 v19, v10, 20, 11
	v_cmp_gt_i32_e32 vcc_lo, 1, v17
	v_lshrrev_b32_e32 v10, 16, v10
	s_delay_alu instid0(VALU_DEP_4) | instskip(NEXT) | instid1(VALU_DEP_4)
	v_and_or_b32 v20, 0xffe, v20, v11
	v_sub_nc_u32_e32 v11, 0x3f1, v19
	s_wait_alu 0xfffd
	v_cndmask_b32_e32 v16, v16, v12, vcc_lo
	v_cmp_eq_u32_e32 vcc_lo, 0x40f, v13
	v_add_nc_u32_e32 v19, 0xfffffc10, v19
	v_or_b32_e32 v21, 0x1000, v20
	v_med3_i32 v22, v11, 0, 13
	v_cvt_f64_f32_e32 v[11:12], v0
	s_wait_alu 0xfffd
	v_cndmask_b32_e32 v0, v23, v24, vcc_lo
	v_and_b32_e32 v24, 7, v16
	v_add_co_u32 v13, vcc_lo, v2, s22
	v_lshrrev_b32_e32 v26, v22, v21
	v_lshrrev_b32_e32 v23, 16, v14
	s_wait_alu 0xfffd
	v_add_co_ci_u32_e32 v14, vcc_lo, s23, v3, vcc_lo
	v_cmp_lt_i32_e32 vcc_lo, 5, v24
	v_cmp_eq_u32_e64 s0, 3, v24
	v_lshrrev_b32_e32 v16, 2, v16
	v_lshlrev_b32_e32 v22, v22, v26
	v_and_or_b32 v0, 0x8000, v23, v0
	v_mul_f64_e32 v[8:9], s[24:25], v[8:9]
	s_or_b32 vcc_lo, s0, vcc_lo
	s_wait_alu 0xfffe
	v_add_co_ci_u32_e32 v16, vcc_lo, 0, v16, vcc_lo
	v_cmp_ne_u32_e64 s1, v22, v21
	v_cmp_ne_u32_e32 vcc_lo, 0, v6
	v_lshl_or_b32 v22, v19, 12, v20
	v_and_or_b32 v4, 0x1ff, v5, v4
	v_and_b32_e32 v0, 0xffff, v0
	s_wait_alu 0xf1ff
	v_cndmask_b32_e64 v21, 0, 1, s1
	s_wait_alu 0xfffd
	v_cndmask_b32_e64 v6, 0, 1, vcc_lo
	v_cmp_gt_i32_e32 vcc_lo, 31, v17
	v_lshrrev_b32_e32 v23, 8, v5
	v_or_b32_e32 v21, v26, v21
	s_delay_alu instid0(VALU_DEP_4)
	v_lshl_or_b32 v6, v6, 9, 0x7c00
	s_wait_alu 0xfffd
	v_cndmask_b32_e32 v16, 0x7c00, v16, vcc_lo
	v_cmp_gt_i32_e32 vcc_lo, 1, v19
	s_wait_alu 0xfffd
	v_cndmask_b32_e32 v21, v22, v21, vcc_lo
	v_cmp_eq_u32_e32 vcc_lo, 0x40f, v17
	v_lshrrev_b32_e32 v17, 16, v7
	s_delay_alu instid0(VALU_DEP_3)
	v_and_b32_e32 v22, 7, v21
	s_wait_alu 0xfffd
	v_cndmask_b32_e32 v16, v16, v6, vcc_lo
	v_cmp_ne_u32_e32 vcc_lo, 0, v4
	v_mul_f64_e32 v[6:7], s[24:25], v[11:12]
	v_bfe_u32 v11, v5, 20, 11
	v_cmp_eq_u32_e64 s0, 3, v22
	v_and_or_b32 v12, 0x8000, v17, v16
	s_wait_alu 0xfffd
	v_cndmask_b32_e64 v4, 0, 1, vcc_lo
	v_cmp_lt_i32_e32 vcc_lo, 5, v22
	v_sub_nc_u32_e32 v16, 0x3f1, v11
	v_and_or_b32 v8, 0x1ff, v9, v8
	v_lshl_or_b32 v0, v12, 16, v0
	v_lshrrev_b32_e32 v12, 2, v21
	v_and_or_b32 v4, 0xffe, v23, v4
	s_or_b32 vcc_lo, s0, vcc_lo
	v_med3_i32 v16, v16, 0, 13
	v_lshrrev_b32_e32 v22, 8, v9
	s_wait_alu 0xfffe
	v_add_co_ci_u32_e32 v12, vcc_lo, 0, v12, vcc_lo
	v_or_b32_e32 v17, 0x1000, v4
	v_cmp_ne_u32_e32 vcc_lo, 0, v20
	v_bfe_u32 v23, v9, 20, 11
	v_add_nc_u32_e32 v11, 0xfffffc10, v11
	v_lshrrev_b32_e32 v5, 16, v5
	v_lshrrev_b32_e32 v21, v16, v17
	s_wait_alu 0xfffd
	v_cndmask_b32_e64 v20, 0, 1, vcc_lo
	v_cmp_gt_i32_e32 vcc_lo, 31, v19
	v_lshrrev_b32_e32 v9, 16, v9
	v_lshlrev_b32_e32 v16, v16, v21
	s_delay_alu instid0(VALU_DEP_4)
	v_lshl_or_b32 v20, v20, 9, 0x7c00
	s_wait_alu 0xfffd
	v_cndmask_b32_e32 v12, 0x7c00, v12, vcc_lo
	v_cmp_ne_u32_e32 vcc_lo, 0, v8
	s_wait_alu 0xfffd
	v_cndmask_b32_e64 v8, 0, 1, vcc_lo
	v_cmp_ne_u32_e32 vcc_lo, v16, v17
	v_sub_nc_u32_e32 v17, 0x3f1, v23
	v_and_or_b32 v6, 0x1ff, v7, v6
	s_delay_alu instid0(VALU_DEP_4)
	v_and_or_b32 v8, 0xffe, v22, v8
	s_wait_alu 0xfffd
	v_cndmask_b32_e64 v16, 0, 1, vcc_lo
	v_cmp_eq_u32_e32 vcc_lo, 0x40f, v19
	v_lshl_or_b32 v19, v11, 12, v4
	v_med3_i32 v17, v17, 0, 13
	v_bfe_u32 v22, v7, 20, 11
	v_or_b32_e32 v16, v21, v16
	s_wait_alu 0xfffd
	v_cndmask_b32_e32 v12, v12, v20, vcc_lo
	v_or_b32_e32 v20, 0x1000, v8
	v_cmp_gt_i32_e32 vcc_lo, 1, v11
	v_lshrrev_b32_e32 v21, 8, v7
	v_lshrrev_b32_e32 v7, 16, v7
	v_and_or_b32 v10, 0x8000, v10, v12
	v_sub_nc_u32_e32 v12, 0x3f1, v22
	s_wait_alu 0xfffd
	v_cndmask_b32_e32 v16, v19, v16, vcc_lo
	v_lshrrev_b32_e32 v19, v17, v20
	v_cmp_ne_u32_e32 vcc_lo, 0, v6
	v_and_b32_e32 v10, 0xffff, v10
	v_med3_i32 v12, v12, 0, 13
	v_and_b32_e32 v24, 7, v16
	v_lshlrev_b32_e32 v17, v17, v19
	s_wait_alu 0xfffd
	v_cndmask_b32_e64 v6, 0, 1, vcc_lo
	v_lshrrev_b32_e32 v16, 2, v16
	v_cmp_lt_i32_e32 vcc_lo, 5, v24
	v_cmp_ne_u32_e64 s0, v17, v20
	s_delay_alu instid0(VALU_DEP_4) | instskip(SKIP_2) | instid1(VALU_DEP_3)
	v_and_or_b32 v6, 0xffe, v21, v6
	v_add_nc_u32_e32 v21, 0xfffffc10, v23
	s_wait_alu 0xf1ff
	v_cndmask_b32_e64 v17, 0, 1, s0
	v_cmp_eq_u32_e64 s0, 3, v24
	v_or_b32_e32 v20, 0x1000, v6
	v_lshl_or_b32 v23, v21, 12, v8
	s_delay_alu instid0(VALU_DEP_4) | instskip(NEXT) | instid1(VALU_DEP_4)
	v_or_b32_e32 v17, v19, v17
	s_or_b32 vcc_lo, s0, vcc_lo
	s_delay_alu instid0(VALU_DEP_3)
	v_lshrrev_b32_e32 v19, v12, v20
	s_wait_alu 0xfffe
	v_add_co_ci_u32_e32 v16, vcc_lo, 0, v16, vcc_lo
	v_cmp_gt_i32_e32 vcc_lo, 1, v21
	s_wait_alu 0xfffd
	v_dual_cndmask_b32 v17, v23, v17 :: v_dual_lshlrev_b32 v12, v12, v19
	v_cmp_ne_u32_e32 vcc_lo, 0, v4
	s_wait_alu 0xfffd
	v_cndmask_b32_e64 v4, 0, 1, vcc_lo
	s_delay_alu instid0(VALU_DEP_3) | instskip(SKIP_2) | instid1(VALU_DEP_4)
	v_cmp_ne_u32_e32 vcc_lo, v12, v20
	v_add_nc_u32_e32 v20, 0xfffffc10, v22
	v_and_b32_e32 v22, 7, v17
	v_lshl_or_b32 v4, v4, 9, 0x7c00
	s_wait_alu 0xfffd
	v_cndmask_b32_e64 v12, 0, 1, vcc_lo
	v_cmp_gt_i32_e32 vcc_lo, 31, v11
	v_cmp_gt_i32_e64 s1, 1, v20
	v_cmp_eq_u32_e64 s0, 3, v22
	s_delay_alu instid0(VALU_DEP_4)
	v_or_b32_e32 v12, v19, v12
	v_lshl_or_b32 v19, v20, 12, v6
	s_wait_alu 0xfffd
	v_cndmask_b32_e32 v16, 0x7c00, v16, vcc_lo
	v_cmp_lt_i32_e32 vcc_lo, 5, v22
	s_wait_alu 0xf1ff
	v_cndmask_b32_e64 v12, v19, v12, s1
	v_cmp_eq_u32_e64 s1, 0x40f, v11
	v_lshrrev_b32_e32 v11, 2, v17
	s_or_b32 vcc_lo, s0, vcc_lo
	s_delay_alu instid0(VALU_DEP_2) | instskip(SKIP_1) | instid1(VALU_DEP_2)
	v_cndmask_b32_e64 v4, v16, v4, s1
	s_wait_alu 0xfffe
	v_add_co_ci_u32_e32 v11, vcc_lo, 0, v11, vcc_lo
	v_and_b32_e32 v16, 7, v12
	v_cmp_ne_u32_e32 vcc_lo, 0, v8
	v_lshrrev_b32_e32 v12, 2, v12
	v_cmp_gt_i32_e64 s1, 31, v21
	s_delay_alu instid0(VALU_DEP_4)
	v_cmp_eq_u32_e64 s0, 3, v16
	s_wait_alu 0xfffd
	v_cndmask_b32_e64 v8, 0, 1, vcc_lo
	v_cmp_lt_i32_e32 vcc_lo, 5, v16
	s_wait_alu 0xf1ff
	v_cndmask_b32_e64 v11, 0x7c00, v11, s1
	s_delay_alu instid0(VALU_DEP_3)
	v_lshl_or_b32 v8, v8, 9, 0x7c00
	s_or_b32 vcc_lo, s0, vcc_lo
	s_wait_alu 0xfffe
	v_add_co_ci_u32_e32 v12, vcc_lo, 0, v12, vcc_lo
	v_cmp_ne_u32_e32 vcc_lo, 0, v6
	s_wait_alu 0xfffd
	v_cndmask_b32_e64 v6, 0, 1, vcc_lo
	v_cmp_eq_u32_e32 vcc_lo, 0x40f, v21
	s_delay_alu instid0(VALU_DEP_2) | instskip(SKIP_3) | instid1(VALU_DEP_2)
	v_lshl_or_b32 v6, v6, 9, 0x7c00
	s_wait_alu 0xfffd
	v_cndmask_b32_e32 v8, v11, v8, vcc_lo
	v_cmp_gt_i32_e32 vcc_lo, 31, v20
	v_and_or_b32 v8, 0x8000, v9, v8
	s_wait_alu 0xfffd
	v_cndmask_b32_e32 v11, 0x7c00, v12, vcc_lo
	v_cmp_eq_u32_e32 vcc_lo, 0x40f, v20
	v_and_or_b32 v12, 0x8000, v5, v4
	v_and_b32_e32 v8, 0xffff, v8
	s_wait_alu 0xfffd
	v_cndmask_b32_e32 v6, v11, v6, vcc_lo
	v_add_co_u32 v4, vcc_lo, v13, s22
	s_wait_alu 0xfffd
	v_add_co_ci_u32_e32 v5, vcc_lo, s23, v14, vcc_lo
	s_delay_alu instid0(VALU_DEP_3) | instskip(NEXT) | instid1(VALU_DEP_3)
	v_and_or_b32 v9, 0x8000, v7, v6
	v_add_co_u32 v6, vcc_lo, v4, s22
	s_wait_alu 0xfffd
	s_delay_alu instid0(VALU_DEP_3) | instskip(NEXT) | instid1(VALU_DEP_3)
	v_add_co_ci_u32_e32 v7, vcc_lo, s23, v5, vcc_lo
	v_lshl_or_b32 v11, v9, 16, v8
	s_delay_alu instid0(VALU_DEP_3)
	v_add_co_u32 v8, vcc_lo, v6, s22
	v_lshl_or_b32 v10, v12, 16, v10
	s_wait_alu 0xfffd
	v_add_co_ci_u32_e32 v9, vcc_lo, s23, v7, vcc_lo
	global_store_b32 v[2:3], v15, off
	global_store_b32 v[13:14], v18, off
	;; [unrolled: 1-line block ×5, first 2 shown]
	global_load_b32 v0, v25, s[20:21] offset:2592
	v_lshrrev_b32_e32 v2, 16, v1
	s_wait_loadcnt 0x0
	v_lshrrev_b32_e32 v3, 16, v0
	s_delay_alu instid0(VALU_DEP_1) | instskip(SKIP_1) | instid1(VALU_DEP_2)
	v_mul_f16_e32 v4, v2, v3
	v_mul_f16_e32 v3, v1, v3
	v_fmac_f16_e32 v4, v1, v0
	s_delay_alu instid0(VALU_DEP_2) | instskip(NEXT) | instid1(VALU_DEP_2)
	v_fma_f16 v0, v0, v2, -v3
	v_cvt_f32_f16_e32 v1, v4
	s_delay_alu instid0(VALU_DEP_2) | instskip(NEXT) | instid1(VALU_DEP_2)
	v_cvt_f32_f16_e32 v2, v0
	v_cvt_f64_f32_e32 v[0:1], v1
	s_delay_alu instid0(VALU_DEP_2) | instskip(NEXT) | instid1(VALU_DEP_2)
	v_cvt_f64_f32_e32 v[2:3], v2
	v_mul_f64_e32 v[0:1], s[24:25], v[0:1]
	s_delay_alu instid0(VALU_DEP_2) | instskip(NEXT) | instid1(VALU_DEP_2)
	v_mul_f64_e32 v[2:3], s[24:25], v[2:3]
	v_and_or_b32 v0, 0x1ff, v1, v0
	s_delay_alu instid0(VALU_DEP_2)
	v_and_or_b32 v2, 0x1ff, v3, v2
	v_lshrrev_b32_e32 v4, 8, v1
	v_bfe_u32 v5, v1, 20, 11
	v_lshrrev_b32_e32 v6, 8, v3
	v_cmp_ne_u32_e32 vcc_lo, 0, v0
	v_bfe_u32 v7, v3, 20, 11
	v_lshrrev_b32_e32 v1, 16, v1
	v_lshrrev_b32_e32 v3, 16, v3
	s_wait_alu 0xfffd
	v_cndmask_b32_e64 v0, 0, 1, vcc_lo
	v_cmp_ne_u32_e32 vcc_lo, 0, v2
	s_delay_alu instid0(VALU_DEP_2)
	v_and_or_b32 v0, 0xffe, v4, v0
	s_wait_alu 0xfffd
	v_cndmask_b32_e64 v2, 0, 1, vcc_lo
	v_sub_nc_u32_e32 v4, 0x3f1, v5
	v_add_nc_u32_e32 v5, 0xfffffc10, v5
	v_or_b32_e32 v10, 0x1000, v0
	s_delay_alu instid0(VALU_DEP_4) | instskip(SKIP_3) | instid1(VALU_DEP_4)
	v_and_or_b32 v2, 0xffe, v6, v2
	v_sub_nc_u32_e32 v6, 0x3f1, v7
	v_med3_i32 v4, v4, 0, 13
	v_add_nc_u32_e32 v7, 0xfffffc10, v7
	v_or_b32_e32 v11, 0x1000, v2
	s_delay_alu instid0(VALU_DEP_4) | instskip(NEXT) | instid1(VALU_DEP_4)
	v_med3_i32 v6, v6, 0, 13
	v_lshrrev_b32_e32 v12, v4, v10
	s_delay_alu instid0(VALU_DEP_2) | instskip(NEXT) | instid1(VALU_DEP_2)
	v_lshrrev_b32_e32 v13, v6, v11
	v_lshlrev_b32_e32 v4, v4, v12
	s_delay_alu instid0(VALU_DEP_2) | instskip(NEXT) | instid1(VALU_DEP_2)
	v_lshlrev_b32_e32 v6, v6, v13
	v_cmp_ne_u32_e32 vcc_lo, v4, v10
	v_lshl_or_b32 v10, v5, 12, v0
	s_wait_alu 0xfffd
	v_cndmask_b32_e64 v4, 0, 1, vcc_lo
	v_cmp_ne_u32_e32 vcc_lo, v6, v11
	v_lshl_or_b32 v11, v7, 12, v2
	s_delay_alu instid0(VALU_DEP_3) | instskip(SKIP_3) | instid1(VALU_DEP_2)
	v_or_b32_e32 v4, v12, v4
	s_wait_alu 0xfffd
	v_cndmask_b32_e64 v6, 0, 1, vcc_lo
	v_cmp_gt_i32_e32 vcc_lo, 1, v5
	v_or_b32_e32 v6, v13, v6
	s_wait_alu 0xfffd
	v_cndmask_b32_e32 v4, v10, v4, vcc_lo
	v_cmp_gt_i32_e32 vcc_lo, 1, v7
	s_delay_alu instid0(VALU_DEP_2) | instskip(SKIP_3) | instid1(VALU_DEP_3)
	v_and_b32_e32 v10, 7, v4
	s_wait_alu 0xfffd
	v_cndmask_b32_e32 v6, v11, v6, vcc_lo
	v_lshrrev_b32_e32 v4, 2, v4
	v_cmp_lt_i32_e32 vcc_lo, 5, v10
	v_cmp_eq_u32_e64 s0, 3, v10
	s_delay_alu instid0(VALU_DEP_4) | instskip(SKIP_1) | instid1(VALU_DEP_3)
	v_and_b32_e32 v11, 7, v6
	v_lshrrev_b32_e32 v6, 2, v6
	s_or_b32 vcc_lo, s0, vcc_lo
	s_delay_alu instid0(VALU_DEP_2)
	v_cmp_lt_i32_e64 s1, 5, v11
	s_wait_alu 0xfffe
	v_add_co_ci_u32_e32 v4, vcc_lo, 0, v4, vcc_lo
	v_cmp_eq_u32_e64 s2, 3, v11
	v_cmp_ne_u32_e32 vcc_lo, 0, v0
	s_wait_alu 0xfffd
	v_cndmask_b32_e64 v0, 0, 1, vcc_lo
	s_delay_alu instid0(VALU_DEP_3)
	s_or_b32 vcc_lo, s2, s1
	s_wait_alu 0xfffe
	v_add_co_ci_u32_e32 v6, vcc_lo, 0, v6, vcc_lo
	v_cmp_ne_u32_e32 vcc_lo, 0, v2
	v_lshl_or_b32 v0, v0, 9, 0x7c00
	s_wait_alu 0xfffd
	v_cndmask_b32_e64 v2, 0, 1, vcc_lo
	v_cmp_gt_i32_e32 vcc_lo, 31, v5
	s_delay_alu instid0(VALU_DEP_2)
	v_lshl_or_b32 v2, v2, 9, 0x7c00
	s_wait_alu 0xfffd
	v_cndmask_b32_e32 v4, 0x7c00, v4, vcc_lo
	v_cmp_gt_i32_e32 vcc_lo, 31, v7
	s_wait_alu 0xfffd
	v_cndmask_b32_e32 v6, 0x7c00, v6, vcc_lo
	v_cmp_eq_u32_e32 vcc_lo, 0x40f, v5
	s_wait_alu 0xfffd
	v_cndmask_b32_e32 v0, v4, v0, vcc_lo
	v_cmp_eq_u32_e32 vcc_lo, 0x40f, v7
	s_delay_alu instid0(VALU_DEP_2) | instskip(SKIP_2) | instid1(VALU_DEP_2)
	v_and_or_b32 v0, 0x8000, v1, v0
	s_wait_alu 0xfffd
	v_cndmask_b32_e32 v2, v6, v2, vcc_lo
	v_and_b32_e32 v0, 0xffff, v0
	s_delay_alu instid0(VALU_DEP_2) | instskip(NEXT) | instid1(VALU_DEP_1)
	v_and_or_b32 v1, 0x8000, v3, v2
	v_lshl_or_b32 v2, v1, 16, v0
	v_add_co_u32 v0, vcc_lo, v8, s22
	s_wait_alu 0xfffd
	v_add_co_ci_u32_e32 v1, vcc_lo, s23, v9, vcc_lo
	global_store_b32 v[0:1], v2, off
.LBB0_15:
	s_nop 0
	s_sendmsg sendmsg(MSG_DEALLOC_VGPRS)
	s_endpgm
	.section	.rodata,"a",@progbits
	.p2align	6, 0x0
	.amdhsa_kernel bluestein_single_fwd_len702_dim1_half_op_CI_CI
		.amdhsa_group_segment_fixed_size 2808
		.amdhsa_private_segment_fixed_size 0
		.amdhsa_kernarg_size 104
		.amdhsa_user_sgpr_count 2
		.amdhsa_user_sgpr_dispatch_ptr 0
		.amdhsa_user_sgpr_queue_ptr 0
		.amdhsa_user_sgpr_kernarg_segment_ptr 1
		.amdhsa_user_sgpr_dispatch_id 0
		.amdhsa_user_sgpr_private_segment_size 0
		.amdhsa_wavefront_size32 1
		.amdhsa_uses_dynamic_stack 0
		.amdhsa_enable_private_segment 0
		.amdhsa_system_sgpr_workgroup_id_x 1
		.amdhsa_system_sgpr_workgroup_id_y 0
		.amdhsa_system_sgpr_workgroup_id_z 0
		.amdhsa_system_sgpr_workgroup_info 0
		.amdhsa_system_vgpr_workitem_id 0
		.amdhsa_next_free_vgpr 157
		.amdhsa_next_free_sgpr 26
		.amdhsa_reserve_vcc 1
		.amdhsa_float_round_mode_32 0
		.amdhsa_float_round_mode_16_64 0
		.amdhsa_float_denorm_mode_32 3
		.amdhsa_float_denorm_mode_16_64 3
		.amdhsa_fp16_overflow 0
		.amdhsa_workgroup_processor_mode 1
		.amdhsa_memory_ordered 1
		.amdhsa_forward_progress 0
		.amdhsa_round_robin_scheduling 0
		.amdhsa_exception_fp_ieee_invalid_op 0
		.amdhsa_exception_fp_denorm_src 0
		.amdhsa_exception_fp_ieee_div_zero 0
		.amdhsa_exception_fp_ieee_overflow 0
		.amdhsa_exception_fp_ieee_underflow 0
		.amdhsa_exception_fp_ieee_inexact 0
		.amdhsa_exception_int_div_zero 0
	.end_amdhsa_kernel
	.text
.Lfunc_end0:
	.size	bluestein_single_fwd_len702_dim1_half_op_CI_CI, .Lfunc_end0-bluestein_single_fwd_len702_dim1_half_op_CI_CI
                                        ; -- End function
	.section	.AMDGPU.csdata,"",@progbits
; Kernel info:
; codeLenInByte = 21152
; NumSgprs: 28
; NumVgprs: 157
; ScratchSize: 0
; MemoryBound: 0
; FloatMode: 240
; IeeeMode: 1
; LDSByteSize: 2808 bytes/workgroup (compile time only)
; SGPRBlocks: 3
; VGPRBlocks: 19
; NumSGPRsForWavesPerEU: 28
; NumVGPRsForWavesPerEU: 157
; Occupancy: 9
; WaveLimiterHint : 1
; COMPUTE_PGM_RSRC2:SCRATCH_EN: 0
; COMPUTE_PGM_RSRC2:USER_SGPR: 2
; COMPUTE_PGM_RSRC2:TRAP_HANDLER: 0
; COMPUTE_PGM_RSRC2:TGID_X_EN: 1
; COMPUTE_PGM_RSRC2:TGID_Y_EN: 0
; COMPUTE_PGM_RSRC2:TGID_Z_EN: 0
; COMPUTE_PGM_RSRC2:TIDIG_COMP_CNT: 0
	.text
	.p2alignl 7, 3214868480
	.fill 96, 4, 3214868480
	.type	__hip_cuid_1db8f257240e4859,@object ; @__hip_cuid_1db8f257240e4859
	.section	.bss,"aw",@nobits
	.globl	__hip_cuid_1db8f257240e4859
__hip_cuid_1db8f257240e4859:
	.byte	0                               ; 0x0
	.size	__hip_cuid_1db8f257240e4859, 1

	.ident	"AMD clang version 19.0.0git (https://github.com/RadeonOpenCompute/llvm-project roc-6.4.0 25133 c7fe45cf4b819c5991fe208aaa96edf142730f1d)"
	.section	".note.GNU-stack","",@progbits
	.addrsig
	.addrsig_sym __hip_cuid_1db8f257240e4859
	.amdgpu_metadata
---
amdhsa.kernels:
  - .args:
      - .actual_access:  read_only
        .address_space:  global
        .offset:         0
        .size:           8
        .value_kind:     global_buffer
      - .actual_access:  read_only
        .address_space:  global
        .offset:         8
        .size:           8
        .value_kind:     global_buffer
      - .actual_access:  read_only
        .address_space:  global
        .offset:         16
        .size:           8
        .value_kind:     global_buffer
      - .actual_access:  read_only
        .address_space:  global
        .offset:         24
        .size:           8
        .value_kind:     global_buffer
      - .actual_access:  read_only
        .address_space:  global
        .offset:         32
        .size:           8
        .value_kind:     global_buffer
      - .offset:         40
        .size:           8
        .value_kind:     by_value
      - .address_space:  global
        .offset:         48
        .size:           8
        .value_kind:     global_buffer
      - .address_space:  global
        .offset:         56
        .size:           8
        .value_kind:     global_buffer
      - .address_space:  global
        .offset:         64
        .size:           8
        .value_kind:     global_buffer
      - .address_space:  global
        .offset:         72
        .size:           8
        .value_kind:     global_buffer
      - .offset:         80
        .size:           4
        .value_kind:     by_value
      - .address_space:  global
        .offset:         88
        .size:           8
        .value_kind:     global_buffer
      - .address_space:  global
        .offset:         96
        .size:           8
        .value_kind:     global_buffer
    .group_segment_fixed_size: 2808
    .kernarg_segment_align: 8
    .kernarg_segment_size: 104
    .language:       OpenCL C
    .language_version:
      - 2
      - 0
    .max_flat_workgroup_size: 117
    .name:           bluestein_single_fwd_len702_dim1_half_op_CI_CI
    .private_segment_fixed_size: 0
    .sgpr_count:     28
    .sgpr_spill_count: 0
    .symbol:         bluestein_single_fwd_len702_dim1_half_op_CI_CI.kd
    .uniform_work_group_size: 1
    .uses_dynamic_stack: false
    .vgpr_count:     157
    .vgpr_spill_count: 0
    .wavefront_size: 32
    .workgroup_processor_mode: 1
amdhsa.target:   amdgcn-amd-amdhsa--gfx1201
amdhsa.version:
  - 1
  - 2
...

	.end_amdgpu_metadata
